;; amdgpu-corpus repo=ROCm/rocFFT kind=compiled arch=gfx950 opt=O3
	.text
	.amdgcn_target "amdgcn-amd-amdhsa--gfx950"
	.amdhsa_code_object_version 6
	.protected	bluestein_single_fwd_len429_dim1_sp_op_CI_CI ; -- Begin function bluestein_single_fwd_len429_dim1_sp_op_CI_CI
	.globl	bluestein_single_fwd_len429_dim1_sp_op_CI_CI
	.p2align	8
	.type	bluestein_single_fwd_len429_dim1_sp_op_CI_CI,@function
bluestein_single_fwd_len429_dim1_sp_op_CI_CI: ; @bluestein_single_fwd_len429_dim1_sp_op_CI_CI
; %bb.0:
	s_load_dwordx4 s[8:11], s[0:1], 0x28
	v_mul_u32_u24_e32 v1, 0x691, v0
	v_lshrrev_b32_e32 v2, 16, v1
	v_mad_u64_u32 v[64:65], s[2:3], s2, 3, v[2:3]
	v_mov_b32_e32 v65, 0
	s_waitcnt lgkmcnt(0)
	v_cmp_gt_u64_e32 vcc, s[8:9], v[64:65]
	s_and_saveexec_b64 s[2:3], vcc
	s_cbranch_execz .LBB0_23
; %bb.1:
	v_mul_lo_u16_e32 v1, 39, v2
	s_mov_b32 s4, 0xaaaaaaab
	v_sub_u16_e32 v66, v0, v1
	v_mul_hi_u32 v0, v64, s4
	s_load_dwordx2 s[2:3], s[0:1], 0x0
	s_load_dwordx2 s[8:9], s[0:1], 0x38
	v_lshrrev_b32_e32 v0, 1, v0
	v_lshl_add_u32 v0, v0, 1, v0
	v_sub_u32_e32 v0, v64, v0
	v_mul_u32_u24_e32 v158, 0x1ad, v0
	v_cmp_gt_u16_e32 vcc, 33, v66
	v_lshlrev_b32_e32 v65, 3, v66
	v_lshlrev_b32_e32 v67, 3, v158
	s_and_saveexec_b64 s[12:13], vcc
	s_cbranch_execz .LBB0_3
; %bb.2:
	s_load_dwordx2 s[4:5], s[0:1], 0x18
	v_mov_b32_e32 v0, s10
	v_mov_b32_e32 v1, s11
	;; [unrolled: 1-line block ×3, first 2 shown]
	v_lshl_add_u32 v54, v66, 3, v67
	s_waitcnt lgkmcnt(0)
	s_load_dwordx4 s[4:7], s[4:5], 0x0
	v_add_u32_e32 v55, v67, v65
	s_waitcnt lgkmcnt(0)
	v_mad_u64_u32 v[2:3], s[10:11], s6, v64, 0
	v_mad_u64_u32 v[4:5], s[10:11], s4, v66, 0
	v_mov_b32_e32 v6, v3
	v_mov_b32_e32 v8, v5
	v_mad_u64_u32 v[6:7], s[6:7], s7, v64, v[6:7]
	v_mov_b32_e32 v3, v6
	v_mad_u64_u32 v[6:7], s[6:7], s5, v66, v[8:9]
	v_mov_b32_e32 v5, v6
	v_lshl_add_u64 v[0:1], v[2:3], 3, v[0:1]
	v_lshl_add_u64 v[0:1], v[4:5], 3, v[0:1]
	global_load_dwordx2 v[2:3], v[0:1], off
	global_load_dwordx2 v[4:5], v65, s[2:3]
	v_mad_u64_u32 v[0:1], s[6:7], s4, v50, v[0:1]
	s_mul_i32 s10, s5, 0x108
	v_add_u32_e32 v1, s10, v1
	v_mad_u64_u32 v[6:7], s[6:7], s4, v50, v[0:1]
	v_add_u32_e32 v7, s10, v7
	global_load_dwordx2 v[8:9], v[0:1], off
	global_load_dwordx2 v[10:11], v[6:7], off
	global_load_dwordx2 v[12:13], v65, s[2:3] offset:264
	v_mad_u64_u32 v[0:1], s[6:7], s4, v50, v[6:7]
	v_add_u32_e32 v1, s10, v1
	v_mad_u64_u32 v[16:17], s[6:7], s4, v50, v[0:1]
	v_add_u32_e32 v17, s10, v17
	global_load_dwordx2 v[6:7], v65, s[2:3] offset:528
	global_load_dwordx2 v[14:15], v65, s[2:3] offset:792
	global_load_dwordx2 v[18:19], v[0:1], off
	global_load_dwordx2 v[20:21], v[16:17], off
	v_mad_u64_u32 v[0:1], s[6:7], s4, v50, v[16:17]
	v_add_u32_e32 v1, s10, v1
	global_load_dwordx2 v[22:23], v[0:1], off
	v_mad_u64_u32 v[0:1], s[6:7], s4, v50, v[0:1]
	v_add_u32_e32 v1, s10, v1
	global_load_dwordx2 v[16:17], v65, s[2:3] offset:1056
	global_load_dwordx2 v[24:25], v65, s[2:3] offset:1320
	global_load_dwordx2 v[26:27], v[0:1], off
	global_load_dwordx2 v[28:29], v65, s[2:3] offset:1584
	v_mad_u64_u32 v[0:1], s[6:7], s4, v50, v[0:1]
	v_add_u32_e32 v1, s10, v1
	global_load_dwordx2 v[30:31], v[0:1], off
	global_load_dwordx2 v[32:33], v65, s[2:3] offset:1848
	v_mad_u64_u32 v[0:1], s[6:7], s4, v50, v[0:1]
	v_add_u32_e32 v1, s10, v1
	;; [unrolled: 4-line block ×6, first 2 shown]
	global_load_dwordx2 v[50:51], v65, s[2:3] offset:3168
	global_load_dwordx2 v[52:53], v[0:1], off
	s_waitcnt vmcnt(24)
	v_mul_f32_e32 v1, v2, v5
	v_mul_f32_e32 v0, v3, v5
	v_fma_f32 v1, v3, v4, -v1
	v_fmac_f32_e32 v0, v2, v4
	ds_write_b64 v54, v[0:1]
	v_add_u32_e32 v4, 0x400, v55
	s_waitcnt vmcnt(21)
	v_mul_f32_e32 v0, v9, v13
	v_mul_f32_e32 v1, v8, v13
	v_fmac_f32_e32 v0, v8, v12
	v_fma_f32 v1, v9, v12, -v1
	s_waitcnt vmcnt(20)
	v_mul_f32_e32 v2, v11, v7
	v_mul_f32_e32 v3, v10, v7
	v_fmac_f32_e32 v2, v10, v6
	v_fma_f32 v3, v11, v6, -v3
	ds_write2_b64 v55, v[0:1], v[2:3] offset0:33 offset1:66
	s_waitcnt vmcnt(18)
	v_mul_f32_e32 v0, v19, v15
	v_mul_f32_e32 v1, v18, v15
	v_fmac_f32_e32 v0, v18, v14
	v_fma_f32 v1, v19, v14, -v1
	s_waitcnt vmcnt(15)
	v_mul_f32_e32 v2, v21, v17
	v_mul_f32_e32 v3, v20, v17
	v_fmac_f32_e32 v2, v20, v16
	v_fma_f32 v3, v21, v16, -v3
	ds_write2_b64 v55, v[0:1], v[2:3] offset0:99 offset1:132
	s_waitcnt vmcnt(14)
	v_mul_f32_e32 v0, v23, v25
	v_mul_f32_e32 v1, v22, v25
	s_waitcnt vmcnt(12)
	v_mul_f32_e32 v2, v27, v29
	v_mul_f32_e32 v3, v26, v29
	v_fmac_f32_e32 v0, v22, v24
	v_fma_f32 v1, v23, v24, -v1
	v_fmac_f32_e32 v2, v26, v28
	v_fma_f32 v3, v27, v28, -v3
	ds_write2_b64 v55, v[0:1], v[2:3] offset0:165 offset1:198
	s_waitcnt vmcnt(10)
	v_mul_f32_e32 v0, v31, v33
	v_mul_f32_e32 v1, v30, v33
	s_waitcnt vmcnt(8)
	v_mul_f32_e32 v2, v35, v37
	v_mul_f32_e32 v3, v34, v37
	v_fmac_f32_e32 v0, v30, v32
	v_fma_f32 v1, v31, v32, -v1
	;; [unrolled: 11-line block ×3, first 2 shown]
	v_fmac_f32_e32 v2, v42, v44
	v_fma_f32 v3, v43, v44, -v3
	v_add_u32_e32 v4, 0x800, v55
	ds_write2_b64 v4, v[0:1], v[2:3] offset0:41 offset1:74
	s_waitcnt vmcnt(2)
	v_mul_f32_e32 v0, v47, v49
	v_mul_f32_e32 v1, v46, v49
	s_waitcnt vmcnt(0)
	v_mul_f32_e32 v2, v53, v51
	v_mul_f32_e32 v3, v52, v51
	v_fmac_f32_e32 v0, v46, v48
	v_fma_f32 v1, v47, v48, -v1
	v_fmac_f32_e32 v2, v52, v50
	v_fma_f32 v3, v53, v50, -v3
	ds_write2_b64 v4, v[0:1], v[2:3] offset0:107 offset1:140
.LBB0_3:
	s_or_b64 exec, exec, s[12:13]
	v_mov_b64_e32 v[0:1], 0
	s_waitcnt lgkmcnt(0)
	s_barrier
	s_waitcnt lgkmcnt(0)
                                        ; implicit-def: $vgpr6
                                        ; implicit-def: $vgpr12
                                        ; implicit-def: $vgpr10
                                        ; implicit-def: $vgpr20
                                        ; implicit-def: $vgpr18
                                        ; implicit-def: $vgpr42
	s_and_saveexec_b64 s[4:5], vcc
	s_cbranch_execz .LBB0_5
; %bb.4:
	v_lshl_add_u32 v24, v158, 3, v65
	ds_read2_b64 v[0:3], v24 offset1:33
	ds_read2_b64 v[16:19], v24 offset0:66 offset1:99
	ds_read2_b64 v[8:11], v24 offset0:132 offset1:165
	;; [unrolled: 1-line block ×3, first 2 shown]
	v_add_u32_e32 v20, 0x800, v24
	ds_read2_b64 v[12:15], v20 offset0:8 offset1:41
	ds_read2_b64 v[20:23], v20 offset0:74 offset1:107
	ds_read_b64 v[42:43], v24 offset:3168
.LBB0_5:
	s_or_b64 exec, exec, s[4:5]
	s_waitcnt lgkmcnt(1)
	v_pk_add_f32 v[28:29], v[16:17], v[22:23] neg_lo:[0,1] neg_hi:[0,1]
	s_mov_b32 s10, 0x3f29c268
	s_waitcnt lgkmcnt(0)
	v_pk_add_f32 v[40:41], v[2:3], v[42:43] neg_lo:[0,1] neg_hi:[0,1]
	v_pk_add_f32 v[26:27], v[22:23], v[16:17]
	s_mov_b32 s12, 0xbf3f9e67
	v_pk_mul_f32 v[34:35], v[28:29], s[10:11] op_sel_hi:[1,0]
	s_mov_b32 s16, 0xbeedf032
	v_pk_add_f32 v[30:31], v[42:43], v[2:3]
	s_mov_b32 s6, 0xbf6f5d39
	v_pk_fma_f32 v[62:63], v[26:27], s[12:13], v[34:35] op_sel:[0,0,1] op_sel_hi:[1,0,0]
	v_pk_fma_f32 v[52:53], v[26:27], s[12:13], v[34:35] op_sel:[0,0,1] op_sel_hi:[1,0,0] neg_lo:[0,0,1] neg_hi:[0,0,1]
	s_mov_b32 s14, 0x3f62ad3f
	v_pk_mul_f32 v[34:35], v[40:41], s[16:17] op_sel_hi:[1,0]
	s_mov_b32 s26, 0xbf52af12
	s_mov_b32 s4, 0xbeb58ec6
	v_pk_mul_f32 v[32:33], v[40:41], s[6:7] op_sel_hi:[1,0]
	v_pk_fma_f32 v[70:71], v[30:31], s[14:15], v[34:35] op_sel:[0,0,1] op_sel_hi:[1,0,0]
	v_pk_fma_f32 v[68:69], v[30:31], s[14:15], v[34:35] op_sel:[0,0,1] op_sel_hi:[1,0,0] neg_lo:[0,0,1] neg_hi:[0,0,1]
	s_mov_b32 s16, 0x3f116cb1
	v_pk_mul_f32 v[36:37], v[28:29], s[26:27] op_sel_hi:[1,0]
	v_mov_b32_e32 v34, v70
	v_mov_b32_e32 v35, v69
	v_pk_fma_f32 v[76:77], v[30:31], s[4:5], v[32:33] op_sel:[0,0,1] op_sel_hi:[1,0,0]
	v_pk_fma_f32 v[54:55], v[30:31], s[4:5], v[32:33] op_sel:[0,0,1] op_sel_hi:[1,0,0] neg_lo:[0,0,1] neg_hi:[0,0,1]
	v_pk_fma_f32 v[78:79], v[26:27], s[16:17], v[36:37] op_sel:[0,0,1] op_sel_hi:[1,0,0]
	v_pk_fma_f32 v[74:75], v[26:27], s[16:17], v[36:37] op_sel:[0,0,1] op_sel_hi:[1,0,0] neg_lo:[0,0,1] neg_hi:[0,0,1]
	v_pk_add_f32 v[34:35], v[34:35], v[0:1]
	v_mov_b32_e32 v32, v76
	v_mov_b32_e32 v33, v55
	;; [unrolled: 1-line block ×4, first 2 shown]
	v_pk_add_f32 v[32:33], v[32:33], v[0:1]
	v_pk_add_f32 v[34:35], v[36:37], v[34:35]
	v_mov_b32_e32 v36, v62
	v_mov_b32_e32 v37, v53
	v_pk_add_f32 v[44:45], v[18:19], v[20:21] neg_lo:[0,1] neg_hi:[0,1]
	s_mov_b32 s20, 0xbf7e222b
	v_pk_add_f32 v[24:25], v[20:21], v[18:19]
	v_pk_add_f32 v[32:33], v[36:37], v[32:33]
	s_mov_b32 s18, 0x3df6dbef
	v_pk_mul_f32 v[36:37], v[44:45], s[20:21] op_sel_hi:[1,0]
	s_mov_b32 s22, 0x3eedf032
	v_pk_fma_f32 v[80:81], v[24:25], s[18:19], v[36:37] op_sel:[0,0,1] op_sel_hi:[1,0,0]
	v_pk_fma_f32 v[82:83], v[24:25], s[18:19], v[36:37] op_sel:[0,0,1] op_sel_hi:[1,0,0] neg_lo:[0,0,1] neg_hi:[0,0,1]
	v_mov_b32_e32 v36, v80
	v_mov_b32_e32 v37, v83
	v_pk_add_f32 v[34:35], v[36:37], v[34:35]
	v_pk_mul_f32 v[36:37], v[44:45], s[22:23] op_sel_hi:[1,0]
	v_pk_add_f32 v[48:49], v[8:9], v[14:15] neg_lo:[0,1] neg_hi:[0,1]
	v_pk_fma_f32 v[92:93], v[24:25], s[14:15], v[36:37] op_sel:[0,0,1] op_sel_hi:[1,0,0]
	v_pk_fma_f32 v[56:57], v[24:25], s[14:15], v[36:37] op_sel:[0,0,1] op_sel_hi:[1,0,0] neg_lo:[0,0,1] neg_hi:[0,0,1]
	v_mov_b32_e32 v36, v92
	v_mov_b32_e32 v37, v57
	v_pk_add_f32 v[32:33], v[36:37], v[32:33]
	v_pk_add_f32 v[46:47], v[14:15], v[8:9]
	v_pk_mul_f32 v[36:37], v[48:49], s[6:7] op_sel_hi:[1,0]
	s_mov_b32 s24, 0xbf29c268
	v_pk_fma_f32 v[84:85], v[46:47], s[4:5], v[36:37] op_sel:[0,0,1] op_sel_hi:[1,0,0]
	v_pk_fma_f32 v[86:87], v[46:47], s[4:5], v[36:37] op_sel:[0,0,1] op_sel_hi:[1,0,0] neg_lo:[0,0,1] neg_hi:[0,0,1]
	v_mov_b32_e32 v36, v84
	v_mov_b32_e32 v37, v87
	v_pk_add_f32 v[34:35], v[36:37], v[34:35]
	v_pk_mul_f32 v[36:37], v[48:49], s[20:21] op_sel_hi:[1,0]
	v_pk_add_f32 v[102:103], v[10:11], v[12:13] neg_lo:[0,1] neg_hi:[0,1]
	v_pk_fma_f32 v[58:59], v[46:47], s[18:19], v[36:37] op_sel:[0,0,1] op_sel_hi:[1,0,0]
	v_pk_fma_f32 v[60:61], v[46:47], s[18:19], v[36:37] op_sel:[0,0,1] op_sel_hi:[1,0,0] neg_lo:[0,0,1] neg_hi:[0,0,1]
	v_mov_b32_e32 v36, v58
	v_mov_b32_e32 v37, v61
	v_pk_add_f32 v[32:33], v[36:37], v[32:33]
	v_pk_add_f32 v[50:51], v[12:13], v[10:11]
	v_pk_mul_f32 v[36:37], v[102:103], s[24:25] op_sel:[1,0] op_sel_hi:[0,0]
	v_pk_fma_f32 v[98:99], v[50:51], s[12:13], v[36:37] op_sel_hi:[1,0,1]
	v_pk_fma_f32 v[100:101], v[50:51], s[12:13], v[36:37] op_sel_hi:[1,0,1] neg_lo:[0,0,1] neg_hi:[0,0,1]
	v_mov_b32_e32 v36, v98
	v_mov_b32_e32 v37, v101
	v_pk_add_f32 v[38:39], v[36:37], v[34:35]
	v_pk_mul_f32 v[34:35], v[40:41], s[26:27] op_sel_hi:[1,0]
	v_pk_mul_f32 v[36:37], v[28:29], s[6:7] op_sel_hi:[1,0]
	v_pk_fma_f32 v[88:89], v[30:31], s[16:17], v[34:35] op_sel:[0,0,1] op_sel_hi:[1,0,0]
	v_pk_fma_f32 v[90:91], v[30:31], s[16:17], v[34:35] op_sel:[0,0,1] op_sel_hi:[1,0,0] neg_lo:[0,0,1] neg_hi:[0,0,1]
	v_mov_b32_e32 v34, v88
	v_mov_b32_e32 v35, v91
	v_pk_fma_f32 v[94:95], v[26:27], s[4:5], v[36:37] op_sel:[0,0,1] op_sel_hi:[1,0,0]
	v_pk_fma_f32 v[96:97], v[26:27], s[4:5], v[36:37] op_sel:[0,0,1] op_sel_hi:[1,0,0] neg_lo:[0,0,1] neg_hi:[0,0,1]
	v_mov_b32_e32 v36, v94
	v_mov_b32_e32 v37, v97
	v_pk_add_f32 v[34:35], v[34:35], v[0:1]
	s_mov_b32 s34, 0xbe750f2a
	v_pk_add_f32 v[34:35], v[36:37], v[34:35]
	s_mov_b32 s30, 0xbf788fa5
	v_pk_mul_f32 v[36:37], v[44:45], s[34:35] op_sel_hi:[1,0]
	s_mov_b32 s28, 0x3f7e222b
	v_pk_fma_f32 v[104:105], v[24:25], s[30:31], v[36:37] op_sel:[0,0,1] op_sel_hi:[1,0,0]
	v_pk_fma_f32 v[106:107], v[24:25], s[30:31], v[36:37] op_sel:[0,0,1] op_sel_hi:[1,0,0] neg_lo:[0,0,1] neg_hi:[0,0,1]
	v_mov_b32_e32 v36, v104
	v_mov_b32_e32 v37, v107
	v_pk_add_f32 v[34:35], v[36:37], v[34:35]
	v_pk_mul_f32 v[36:37], v[48:49], s[10:11] op_sel_hi:[1,0]
	v_pk_mul_f32 v[72:73], v[28:29], s[34:35] op_sel_hi:[1,0]
	v_pk_fma_f32 v[108:109], v[46:47], s[12:13], v[36:37] op_sel:[0,0,1] op_sel_hi:[1,0,0]
	v_pk_fma_f32 v[110:111], v[46:47], s[12:13], v[36:37] op_sel:[0,0,1] op_sel_hi:[1,0,0] neg_lo:[0,0,1] neg_hi:[0,0,1]
	v_mov_b32_e32 v36, v108
	v_mov_b32_e32 v37, v111
	v_pk_add_f32 v[34:35], v[36:37], v[34:35]
	v_pk_mul_f32 v[36:37], v[102:103], s[28:29] op_sel:[1,0] op_sel_hi:[0,0]
	v_pk_fma_f32 v[116:117], v[50:51], s[18:19], v[36:37] op_sel_hi:[1,0,1]
	v_pk_fma_f32 v[122:123], v[50:51], s[18:19], v[36:37] op_sel_hi:[1,0,1] neg_lo:[0,0,1] neg_hi:[0,0,1]
	v_mov_b32_e32 v36, v116
	v_mov_b32_e32 v37, v123
	v_pk_add_f32 v[34:35], v[36:37], v[34:35]
	v_pk_mul_f32 v[36:37], v[40:41], s[20:21] op_sel_hi:[1,0]
	v_pk_fma_f32 v[118:119], v[26:27], s[30:31], v[72:73] op_sel:[0,0,1] op_sel_hi:[1,0,0]
	v_pk_fma_f32 v[112:113], v[30:31], s[18:19], v[36:37] op_sel:[0,0,1] op_sel_hi:[1,0,0]
	v_pk_fma_f32 v[114:115], v[30:31], s[18:19], v[36:37] op_sel:[0,0,1] op_sel_hi:[1,0,0] neg_lo:[0,0,1] neg_hi:[0,0,1]
	v_mov_b32_e32 v36, v112
	v_mov_b32_e32 v37, v115
	v_pk_fma_f32 v[120:121], v[26:27], s[30:31], v[72:73] op_sel:[0,0,1] op_sel_hi:[1,0,0] neg_lo:[0,0,1] neg_hi:[0,0,1]
	v_mov_b32_e32 v72, v118
	v_mov_b32_e32 v73, v121
	v_pk_add_f32 v[36:37], v[36:37], v[0:1]
	s_mov_b32 s10, 0x3f6f5d39
	v_pk_add_f32 v[36:37], v[72:73], v[36:37]
	v_pk_mul_f32 v[72:73], v[44:45], s[10:11] op_sel_hi:[1,0]
	s_mov_b32 s38, 0x3e750f2a
	v_pk_fma_f32 v[128:129], v[24:25], s[4:5], v[72:73] op_sel:[0,0,1] op_sel_hi:[1,0,0]
	v_pk_fma_f32 v[130:131], v[24:25], s[4:5], v[72:73] op_sel:[0,0,1] op_sel_hi:[1,0,0] neg_lo:[0,0,1] neg_hi:[0,0,1]
	v_mov_b32_e32 v72, v128
	v_mov_b32_e32 v73, v131
	v_pk_add_f32 v[36:37], v[72:73], v[36:37]
	v_pk_mul_f32 v[72:73], v[48:49], s[22:23] op_sel_hi:[1,0]
	v_pk_add_f32 v[152:153], v[4:5], v[6:7] neg_lo:[0,1] neg_hi:[0,1]
	v_pk_fma_f32 v[132:133], v[46:47], s[14:15], v[72:73] op_sel:[0,0,1] op_sel_hi:[1,0,0]
	v_pk_fma_f32 v[134:135], v[46:47], s[14:15], v[72:73] op_sel:[0,0,1] op_sel_hi:[1,0,0] neg_lo:[0,0,1] neg_hi:[0,0,1]
	v_mov_b32_e32 v72, v132
	v_mov_b32_e32 v73, v135
	v_pk_add_f32 v[36:37], v[72:73], v[36:37]
	v_pk_mul_f32 v[72:73], v[102:103], s[26:27] op_sel:[1,0] op_sel_hi:[0,0]
	v_pk_fma_f32 v[136:137], v[50:51], s[16:17], v[72:73] op_sel_hi:[1,0,1]
	v_pk_fma_f32 v[138:139], v[50:51], s[16:17], v[72:73] op_sel_hi:[1,0,1] neg_lo:[0,0,1] neg_hi:[0,0,1]
	v_mov_b32_e32 v72, v136
	v_mov_b32_e32 v73, v139
	v_pk_add_f32 v[36:37], v[72:73], v[36:37]
	v_pk_mul_f32 v[72:73], v[102:103], s[38:39] op_sel:[1,0] op_sel_hi:[0,0]
	v_pk_fma_f32 v[124:125], v[50:51], s[30:31], v[72:73] op_sel_hi:[1,0,1]
	v_pk_fma_f32 v[126:127], v[50:51], s[30:31], v[72:73] op_sel_hi:[1,0,1] neg_lo:[0,0,1] neg_hi:[0,0,1]
	v_mov_b32_e32 v72, v124
	v_mov_b32_e32 v73, v127
	v_pk_add_f32 v[32:33], v[72:73], v[32:33]
	v_pk_add_f32 v[72:73], v[6:7], v[4:5]
	v_pk_mul_f32 v[140:141], v[152:153], s[22:23] op_sel:[1,0] op_sel_hi:[0,0]
	v_pk_fma_f32 v[148:149], v[72:73], s[14:15], v[140:141] op_sel_hi:[1,0,1]
	v_pk_fma_f32 v[150:151], v[72:73], s[14:15], v[140:141] op_sel_hi:[1,0,1] neg_lo:[0,0,1] neg_hi:[0,0,1]
	v_mov_b32_e32 v140, v148
	v_mov_b32_e32 v141, v151
	v_pk_add_f32 v[34:35], v[140:141], v[34:35]
	v_pk_mul_f32 v[140:141], v[152:153], s[24:25] op_sel:[1,0] op_sel_hi:[0,0]
	v_pk_fma_f32 v[144:145], v[72:73], s[12:13], v[140:141] op_sel_hi:[1,0,1]
	v_pk_fma_f32 v[146:147], v[72:73], s[12:13], v[140:141] op_sel_hi:[1,0,1] neg_lo:[0,0,1] neg_hi:[0,0,1]
	s_mov_b32 s36, 0x3f52af12
	v_mov_b32_e32 v140, v144
	v_mov_b32_e32 v141, v147
	v_pk_mul_f32 v[142:143], v[152:153], s[36:37] op_sel:[1,0] op_sel_hi:[0,0]
	v_pk_add_f32 v[36:37], v[140:141], v[36:37]
	v_pk_fma_f32 v[140:141], v[72:73], s[16:17], v[142:143] op_sel_hi:[1,0,1]
	v_pk_fma_f32 v[142:143], v[72:73], s[16:17], v[142:143] op_sel_hi:[1,0,1] neg_lo:[0,0,1] neg_hi:[0,0,1]
	s_load_dwordx2 s[20:21], s[0:1], 0x20
	s_load_dwordx2 s[10:11], s[0:1], 0x8
	v_mov_b32_e32 v154, v140
	v_mov_b32_e32 v155, v143
	v_pk_mul_f32 v[156:157], v[152:153], s[34:35] op_sel:[1,0] op_sel_hi:[0,0]
	v_pk_add_f32 v[32:33], v[154:155], v[32:33]
	v_pk_fma_f32 v[154:155], v[72:73], s[30:31], v[156:157] op_sel_hi:[1,0,1]
	v_pk_fma_f32 v[156:157], v[72:73], s[30:31], v[156:157] op_sel_hi:[1,0,1] neg_lo:[0,0,1] neg_hi:[0,0,1]
	v_mov_b32_e32 v160, v154
	v_mov_b32_e32 v161, v157
	v_pk_add_f32 v[38:39], v[160:161], v[38:39]
	v_mul_lo_u16_e32 v172, 13, v66
	s_waitcnt lgkmcnt(0)
	s_barrier
	s_and_saveexec_b64 s[0:1], vcc
	s_cbranch_execz .LBB0_7
; %bb.6:
	v_pk_add_f32 v[2:3], v[2:3], v[0:1]
	v_mov_b32_e32 v69, v71
	v_pk_add_f32 v[2:3], v[16:17], v[2:3]
	v_mov_b32_e32 v75, v79
	;; [unrolled: 2-line block ×3, first 2 shown]
	v_pk_add_f32 v[2:3], v[8:9], v[2:3]
	v_pk_add_f32 v[8:9], v[68:69], v[0:1]
	;; [unrolled: 1-line block ×7, first 2 shown]
	v_mov_b32_e32 v87, v85
	v_pk_add_f32 v[2:3], v[12:13], v[2:3]
	v_pk_add_f32 v[8:9], v[86:87], v[8:9]
	v_pk_add_f32 v[2:3], v[14:15], v[2:3]
	v_mov_b32_e32 v101, v99
	v_pk_add_f32 v[2:3], v[20:21], v[2:3]
	v_pk_add_f32 v[8:9], v[100:101], v[8:9]
	;; [unrolled: 1-line block ×3, first 2 shown]
	v_mov_b32_e32 v157, v155
	v_pk_add_f32 v[2:3], v[42:43], v[2:3]
	v_add_lshl_u32 v62, v158, v172, 3
	v_pk_add_f32 v[8:9], v[156:157], v[8:9]
	v_mov_b32_e32 v91, v89
	v_mov_b32_e32 v115, v113
	ds_write2_b64 v62, v[2:3], v[8:9] offset1:1
	v_pk_add_f32 v[2:3], v[90:91], v[0:1]
	v_mov_b32_e32 v97, v95
	v_pk_add_f32 v[8:9], v[114:115], v[0:1]
	v_mov_b32_e32 v121, v119
	;; [unrolled: 2-line block ×10, first 2 shown]
	v_pk_add_f32 v[2:3], v[150:151], v[2:3]
	v_pk_add_f32 v[8:9], v[146:147], v[8:9]
	ds_write2_b64 v62, v[2:3], v[8:9] offset0:2 offset1:3
	v_pk_mul_f32 v[8:9], v[40:41], s[24:25] op_sel_hi:[1,0]
	v_pk_mul_f32 v[14:15], v[28:29], s[28:29] op_sel_hi:[1,0]
	v_pk_fma_f32 v[10:11], v[30:31], s[12:13], v[8:9] op_sel:[0,0,1] op_sel_hi:[1,0,0] neg_lo:[0,0,1] neg_hi:[0,0,1]
	v_pk_fma_f32 v[8:9], v[30:31], s[12:13], v[8:9] op_sel:[0,0,1] op_sel_hi:[1,0,0]
	v_mov_b32_e32 v12, v10
	v_mov_b32_e32 v13, v9
	v_pk_fma_f32 v[16:17], v[26:27], s[18:19], v[14:15] op_sel:[0,0,1] op_sel_hi:[1,0,0] neg_lo:[0,0,1] neg_hi:[0,0,1]
	v_pk_fma_f32 v[14:15], v[26:27], s[18:19], v[14:15] op_sel:[0,0,1] op_sel_hi:[1,0,0]
	v_pk_add_f32 v[12:13], v[12:13], v[0:1]
	v_mov_b32_e32 v18, v16
	v_mov_b32_e32 v19, v15
	v_pk_add_f32 v[12:13], v[18:19], v[12:13]
	v_pk_mul_f32 v[18:19], v[44:45], s[26:27] op_sel_hi:[1,0]
	v_mov_b32_e32 v55, v77
	v_pk_fma_f32 v[20:21], v[24:25], s[16:17], v[18:19] op_sel:[0,0,1] op_sel_hi:[1,0,0] neg_lo:[0,0,1] neg_hi:[0,0,1]
	v_pk_fma_f32 v[18:19], v[24:25], s[16:17], v[18:19] op_sel:[0,0,1] op_sel_hi:[1,0,0]
	v_mov_b32_e32 v22, v20
	v_mov_b32_e32 v23, v19
	v_pk_add_f32 v[12:13], v[22:23], v[12:13]
	v_pk_mul_f32 v[22:23], v[48:49], s[38:39] op_sel_hi:[1,0]
	v_mov_b32_e32 v53, v63
	v_pk_add_f32 v[2:3], v[54:55], v[0:1]
	v_pk_fma_f32 v[42:43], v[46:47], s[30:31], v[22:23] op_sel:[0,0,1] op_sel_hi:[1,0,0] neg_lo:[0,0,1] neg_hi:[0,0,1]
	v_pk_fma_f32 v[22:23], v[46:47], s[30:31], v[22:23] op_sel:[0,0,1] op_sel_hi:[1,0,0]
	v_mov_b32_e32 v4, v103
	v_mov_b32_e32 v5, v102
	v_pk_add_f32 v[2:3], v[52:53], v[2:3]
	v_mov_b32_e32 v52, v42
	v_mov_b32_e32 v53, v23
	v_pk_add_f32 v[12:13], v[52:53], v[12:13]
	v_pk_mul_f32 v[52:53], v[4:5], s[22:23] op_sel_hi:[1,0]
	v_mov_b32_e32 v57, v93
	v_pk_fma_f32 v[54:55], v[50:51], s[14:15], v[52:53] op_sel_hi:[1,0,1] neg_lo:[0,0,1] neg_hi:[0,0,1]
	v_pk_fma_f32 v[52:53], v[50:51], s[14:15], v[52:53] op_sel_hi:[1,0,1]
	v_mov_b32_e32 v6, v153
	v_mov_b32_e32 v7, v152
	v_pk_add_f32 v[2:3], v[56:57], v[2:3]
	v_mov_b32_e32 v56, v54
	v_mov_b32_e32 v57, v53
	;; [unrolled: 1-line block ×3, first 2 shown]
	v_pk_add_f32 v[12:13], v[56:57], v[12:13]
	v_pk_mul_f32 v[56:57], v[6:7], s[6:7] op_sel_hi:[1,0]
	v_pk_add_f32 v[2:3], v[60:61], v[2:3]
	v_mov_b32_e32 v127, v125
	v_pk_fma_f32 v[58:59], v[72:73], s[4:5], v[56:57] op_sel_hi:[1,0,1] neg_lo:[0,0,1] neg_hi:[0,0,1]
	v_pk_fma_f32 v[56:57], v[72:73], s[4:5], v[56:57] op_sel_hi:[1,0,1]
	v_pk_add_f32 v[2:3], v[126:127], v[2:3]
	v_mov_b32_e32 v143, v141
	v_mov_b32_e32 v60, v58
	;; [unrolled: 1-line block ×3, first 2 shown]
	v_pk_add_f32 v[2:3], v[142:143], v[2:3]
	v_pk_add_f32 v[12:13], v[60:61], v[12:13]
	ds_write2_b64 v62, v[2:3], v[12:13] offset0:4 offset1:5
	v_pk_mul_f32 v[2:3], v[40:41], s[34:35] op_sel_hi:[1,0]
	v_pk_mul_f32 v[28:29], v[28:29], s[22:23] op_sel_hi:[1,0]
	v_pk_fma_f32 v[12:13], v[30:31], s[30:31], v[2:3] op_sel:[0,0,1] op_sel_hi:[1,0,0] neg_lo:[0,0,1] neg_hi:[0,0,1]
	v_pk_fma_f32 v[2:3], v[30:31], s[30:31], v[2:3] op_sel:[0,0,1] op_sel_hi:[1,0,0]
	v_mov_b32_e32 v30, v12
	v_mov_b32_e32 v31, v3
	v_pk_fma_f32 v[40:41], v[26:27], s[14:15], v[28:29] op_sel:[0,0,1] op_sel_hi:[1,0,0] neg_lo:[0,0,1] neg_hi:[0,0,1]
	v_pk_fma_f32 v[26:27], v[26:27], s[14:15], v[28:29] op_sel:[0,0,1] op_sel_hi:[1,0,0]
	v_pk_add_f32 v[30:31], v[30:31], v[0:1]
	v_mov_b32_e32 v28, v40
	v_mov_b32_e32 v29, v27
	v_pk_add_f32 v[28:29], v[28:29], v[30:31]
	v_pk_mul_f32 v[30:31], v[44:45], s[24:25] op_sel_hi:[1,0]
	v_mov_b32_e32 v3, v13
	v_pk_fma_f32 v[44:45], v[24:25], s[12:13], v[30:31] op_sel:[0,0,1] op_sel_hi:[1,0,0] neg_lo:[0,0,1] neg_hi:[0,0,1]
	v_pk_fma_f32 v[24:25], v[24:25], s[12:13], v[30:31] op_sel:[0,0,1] op_sel_hi:[1,0,0]
	v_mov_b32_e32 v30, v44
	v_mov_b32_e32 v31, v25
	v_pk_add_f32 v[28:29], v[30:31], v[28:29]
	v_pk_mul_f32 v[30:31], v[48:49], s[36:37] op_sel_hi:[1,0]
	v_mov_b32_e32 v9, v11
	v_pk_fma_f32 v[48:49], v[46:47], s[16:17], v[30:31] op_sel:[0,0,1] op_sel_hi:[1,0,0] neg_lo:[0,0,1] neg_hi:[0,0,1]
	v_pk_fma_f32 v[30:31], v[46:47], s[16:17], v[30:31] op_sel:[0,0,1] op_sel_hi:[1,0,0]
	v_mov_b32_e32 v46, v48
	v_mov_b32_e32 v47, v31
	v_pk_mul_f32 v[4:5], v[4:5], s[6:7] op_sel_hi:[1,0]
	v_pk_add_f32 v[2:3], v[2:3], v[0:1]
	v_mov_b32_e32 v27, v41
	v_pk_add_f32 v[0:1], v[8:9], v[0:1]
	v_mov_b32_e32 v15, v17
	v_pk_add_f32 v[28:29], v[46:47], v[28:29]
	v_pk_fma_f32 v[46:47], v[50:51], s[4:5], v[4:5] op_sel_hi:[1,0,1] neg_lo:[0,0,1] neg_hi:[0,0,1]
	v_pk_fma_f32 v[4:5], v[50:51], s[4:5], v[4:5] op_sel_hi:[1,0,1]
	v_pk_add_f32 v[2:3], v[26:27], v[2:3]
	v_mov_b32_e32 v25, v45
	v_pk_add_f32 v[0:1], v[14:15], v[0:1]
	v_mov_b32_e32 v19, v21
	v_mov_b32_e32 v50, v46
	v_mov_b32_e32 v51, v5
	v_pk_mul_f32 v[6:7], v[6:7], s[28:29] op_sel_hi:[1,0]
	v_pk_add_f32 v[2:3], v[24:25], v[2:3]
	v_mov_b32_e32 v31, v49
	v_pk_add_f32 v[0:1], v[18:19], v[0:1]
	v_mov_b32_e32 v23, v43
	v_pk_add_f32 v[28:29], v[50:51], v[28:29]
	v_pk_fma_f32 v[50:51], v[72:73], s[18:19], v[6:7] op_sel_hi:[1,0,1] neg_lo:[0,0,1] neg_hi:[0,0,1]
	v_pk_fma_f32 v[6:7], v[72:73], s[18:19], v[6:7] op_sel_hi:[1,0,1]
	v_pk_add_f32 v[2:3], v[30:31], v[2:3]
	v_mov_b32_e32 v5, v47
	v_pk_add_f32 v[0:1], v[22:23], v[0:1]
	v_mov_b32_e32 v53, v55
	v_mov_b32_e32 v60, v50
	;; [unrolled: 1-line block ×3, first 2 shown]
	v_pk_add_f32 v[2:3], v[4:5], v[2:3]
	v_mov_b32_e32 v7, v51
	v_pk_add_f32 v[0:1], v[52:53], v[0:1]
	v_mov_b32_e32 v57, v59
	v_pk_add_f32 v[28:29], v[60:61], v[28:29]
	v_pk_add_f32 v[2:3], v[6:7], v[2:3]
	;; [unrolled: 1-line block ×3, first 2 shown]
	ds_write2_b64 v62, v[28:29], v[2:3] offset0:6 offset1:7
	ds_write2_b64 v62, v[0:1], v[32:33] offset0:8 offset1:9
	;; [unrolled: 1-line block ×3, first 2 shown]
	ds_write_b64 v62, v[38:39] offset:96
.LBB0_7:
	s_or_b64 exec, exec, s[0:1]
	v_add_lshl_u32 v168, v158, v66, 3
	v_add_u32_e32 v0, 0x800, v168
	s_waitcnt lgkmcnt(0)
	s_barrier
	ds_read2_b64 v[24:27], v168 offset1:39
	ds_read2_b64 v[16:19], v168 offset0:78 offset1:143
	ds_read2_b64 v[28:31], v0 offset0:30 offset1:69
	;; [unrolled: 1-line block ×3, first 2 shown]
	ds_read_b64 v[40:41], v168 offset:2912
	v_cmp_gt_u16_e64 s[0:1], 26, v66
	s_and_saveexec_b64 s[4:5], s[0:1]
	s_cbranch_execz .LBB0_9
; %bb.8:
	v_add_u32_e32 v0, 0x200, v168
	ds_read2_b64 v[0:3], v0 offset0:53 offset1:196
	ds_read_b64 v[34:35], v168 offset:3224
	s_waitcnt lgkmcnt(1)
	v_mov_b64_e32 v[32:33], v[0:1]
	v_mov_b64_e32 v[36:37], v[2:3]
.LBB0_9:
	s_or_b64 exec, exec, s[4:5]
	s_movk_i32 s4, 0x4f
	v_mul_lo_u16_sdwa v0, v66, s4 dst_sel:DWORD dst_unused:UNUSED_PAD src0_sel:BYTE_0 src1_sel:DWORD
	v_lshrrev_b16_e32 v42, 10, v0
	v_mul_lo_u16_e32 v0, 13, v42
	v_add_u16_e32 v5, 39, v66
	v_sub_u16_e32 v43, v66, v0
	v_mul_lo_u16_sdwa v0, v5, s4 dst_sel:DWORD dst_unused:UNUSED_PAD src0_sel:BYTE_0 src1_sel:DWORD
	v_lshrrev_b16_e32 v44, 10, v0
	v_add_u16_e32 v0, 0x75, v66
	v_mul_lo_u16_sdwa v1, v0, s4 dst_sel:DWORD dst_unused:UNUSED_PAD src0_sel:BYTE_0 src1_sel:DWORD
	v_lshrrev_b16_e32 v55, 10, v1
	v_mul_lo_u16_e32 v1, 13, v55
	v_mov_b32_e32 v12, 4
	v_mul_lo_u16_e32 v6, 13, v44
	v_sub_u16_e32 v170, v0, v1
	v_lshlrev_b32_sdwa v4, v12, v43 dst_sel:DWORD dst_unused:UNUSED_PAD src0_sel:DWORD src1_sel:BYTE_0
	v_lshlrev_b32_sdwa v0, v12, v170 dst_sel:DWORD dst_unused:UNUSED_PAD src0_sel:DWORD src1_sel:BYTE_0
	v_sub_u16_e32 v45, v5, v6
	global_load_dwordx4 v[0:3], v0, s[10:11]
	v_lshlrev_b32_sdwa v8, v12, v45 dst_sel:DWORD dst_unused:UNUSED_PAD src0_sel:DWORD src1_sel:BYTE_0
	global_load_dwordx4 v[4:7], v4, s[10:11]
	v_add_u16_e32 v13, 0x4e, v66
	global_load_dwordx4 v[8:11], v8, s[10:11]
	v_mul_lo_u16_sdwa v14, v13, s4 dst_sel:DWORD dst_unused:UNUSED_PAD src0_sel:BYTE_0 src1_sel:DWORD
	v_lshrrev_b16_e32 v56, 10, v14
	v_mul_lo_u16_e32 v14, 13, v56
	v_sub_u16_e32 v57, v13, v14
	v_lshlrev_b32_sdwa v12, v12, v57 dst_sel:DWORD dst_unused:UNUSED_PAD src0_sel:DWORD src1_sel:BYTE_0
	global_load_dwordx4 v[12:15], v12, s[10:11]
	v_mul_u32_u24_e32 v42, 39, v42
	v_mul_u32_u24_e32 v44, 39, v44
	v_add_u32_sdwa v42, v42, v43 dst_sel:DWORD dst_unused:UNUSED_PAD src0_sel:DWORD src1_sel:BYTE_0
	v_add_u32_sdwa v43, v44, v45 dst_sel:DWORD dst_unused:UNUSED_PAD src0_sel:DWORD src1_sel:BYTE_0
	v_add_lshl_u32 v173, v158, v42, 3
	v_add_lshl_u32 v171, v158, v43, 3
	s_mov_b32 s12, 0x3f5db3d7
	s_load_dwordx4 s[4:7], s[20:21], 0x0
	s_waitcnt lgkmcnt(0)
	s_barrier
	v_mul_u32_u24_e32 v175, 39, v55
	s_waitcnt vmcnt(3)
	v_pk_mul_f32 v[44:45], v[36:37], v[0:1] op_sel:[1,0]
	v_pk_mul_f32 v[46:47], v[34:35], v[2:3] op_sel:[1,0]
	s_waitcnt vmcnt(2)
	v_pk_mul_f32 v[48:49], v[18:19], v[4:5] op_sel:[0,1]
	v_mov_b32_e32 v50, v7
	s_waitcnt vmcnt(1)
	v_pk_mul_f32 v[52:53], v[20:21], v[8:9] op_sel:[0,1]
	v_mov_b32_e32 v54, v11
	v_pk_fma_f32 v[42:43], v[36:37], v[0:1], v[44:45] op_sel:[0,0,1] op_sel_hi:[1,1,0] neg_lo:[0,0,1] neg_hi:[0,0,1]
	v_pk_fma_f32 v[36:37], v[36:37], v[0:1], v[44:45] op_sel:[0,0,1] op_sel_hi:[0,1,0]
	v_pk_fma_f32 v[44:45], v[34:35], v[2:3], v[46:47] op_sel:[0,0,1] op_sel_hi:[1,1,0] neg_lo:[0,0,1] neg_hi:[0,0,1]
	v_pk_fma_f32 v[34:35], v[34:35], v[2:3], v[46:47] op_sel:[0,0,1] op_sel_hi:[0,1,0]
	;; [unrolled: 2-line block ×3, first 2 shown]
	v_pk_mul_f32 v[48:49], v[28:29], v[50:51] op_sel_hi:[1,0]
	v_pk_fma_f32 v[50:51], v[20:21], v[8:9], v[52:53] op_sel:[0,0,1] op_sel_hi:[1,1,0] neg_lo:[0,0,1] neg_hi:[0,0,1]
	v_pk_fma_f32 v[20:21], v[20:21], v[8:9], v[52:53] op_sel:[0,0,1] op_sel_hi:[1,0,0]
	v_pk_mul_f32 v[52:53], v[30:31], v[54:55] op_sel_hi:[1,0]
	v_mov_b32_e32 v43, v37
	v_mov_b32_e32 v45, v35
	;; [unrolled: 1-line block ×3, first 2 shown]
	v_pk_fma_f32 v[18:19], v[28:29], v[6:7], v[48:49] op_sel:[0,0,1] op_sel_hi:[1,1,0] neg_lo:[0,0,1] neg_hi:[0,0,1]
	v_pk_fma_f32 v[28:29], v[28:29], v[6:7], v[48:49] op_sel:[0,0,1] op_sel_hi:[1,0,0]
	v_mov_b32_e32 v51, v21
	v_pk_fma_f32 v[20:21], v[30:31], v[10:11], v[52:53] op_sel:[0,0,1] op_sel_hi:[1,1,0] neg_lo:[0,0,1] neg_hi:[0,0,1]
	v_pk_fma_f32 v[30:31], v[30:31], v[10:11], v[52:53] op_sel:[0,0,1] op_sel_hi:[1,0,0]
	v_pk_add_f32 v[34:35], v[42:43], v[44:45]
	v_pk_add_f32 v[36:37], v[42:43], v[44:45] neg_lo:[0,1] neg_hi:[0,1]
	v_mov_b32_e32 v19, v29
	v_pk_add_f32 v[28:29], v[24:25], v[46:47]
	v_mov_b32_e32 v21, v31
	v_pk_add_f32 v[30:31], v[26:27], v[50:51]
	v_pk_fma_f32 v[34:35], v[34:35], 0.5, v[32:33] op_sel_hi:[1,0,1] neg_lo:[1,0,0] neg_hi:[1,0,0]
	v_pk_mul_f32 v[36:37], v[36:37], s[12:13] op_sel_hi:[1,0]
	v_pk_add_f32 v[48:49], v[46:47], v[18:19]
	v_pk_add_f32 v[46:47], v[46:47], v[18:19] neg_lo:[0,1] neg_hi:[0,1]
	v_pk_add_f32 v[28:29], v[28:29], v[18:19]
	v_pk_add_f32 v[30:31], v[30:31], v[20:21]
	;; [unrolled: 1-line block ×3, first 2 shown]
	v_pk_add_f32 v[50:51], v[50:51], v[20:21] neg_lo:[0,1] neg_hi:[0,1]
	v_pk_add_f32 v[18:19], v[34:35], v[36:37] op_sel:[0,1] op_sel_hi:[1,0] neg_lo:[0,1] neg_hi:[0,1]
	v_pk_add_f32 v[20:21], v[34:35], v[36:37] op_sel:[0,1] op_sel_hi:[1,0]
	v_pk_fma_f32 v[24:25], v[48:49], 0.5, v[24:25] op_sel_hi:[1,0,1] neg_lo:[1,0,0] neg_hi:[1,0,0]
	v_pk_mul_f32 v[34:35], v[46:47], s[12:13] op_sel_hi:[1,0]
	v_pk_fma_f32 v[26:27], v[52:53], 0.5, v[26:27] op_sel_hi:[1,0,1] neg_lo:[1,0,0] neg_hi:[1,0,0]
	v_pk_mul_f32 v[46:47], v[50:51], s[12:13] op_sel_hi:[1,0]
	v_pk_add_f32 v[48:49], v[24:25], v[34:35] op_sel:[0,1] op_sel_hi:[1,0]
	v_pk_add_f32 v[24:25], v[24:25], v[34:35] op_sel:[0,1] op_sel_hi:[1,0] neg_lo:[0,1] neg_hi:[0,1]
	v_pk_add_f32 v[34:35], v[26:27], v[46:47] op_sel:[0,1] op_sel_hi:[1,0]
	v_pk_add_f32 v[26:27], v[26:27], v[46:47] op_sel:[0,1] op_sel_hi:[1,0] neg_lo:[0,1] neg_hi:[0,1]
	v_mov_b32_e32 v46, v48
	v_mov_b32_e32 v47, v25
	;; [unrolled: 1-line block ×4, first 2 shown]
	ds_write2_b64 v173, v[28:29], v[46:47] offset1:13
	ds_write_b64 v173, v[24:25] offset:208
	v_mov_b32_e32 v24, v34
	v_mov_b32_e32 v25, v27
	v_mul_u32_u24_e32 v18, 39, v56
	ds_write2_b64 v171, v[30:31], v[24:25] offset1:13
	v_mov_b32_e32 v27, v35
	v_add_u32_sdwa v18, v18, v57 dst_sel:DWORD dst_unused:UNUSED_PAD src0_sel:DWORD src1_sel:BYTE_0
	s_waitcnt vmcnt(0)
	v_pk_mul_f32 v[24:25], v[22:23], v[12:13] op_sel:[0,1]
	ds_write_b64 v171, v[26:27] offset:208
	v_add_lshl_u32 v174, v158, v18, 3
	v_pk_fma_f32 v[26:27], v[22:23], v[12:13], v[24:25] op_sel:[0,0,1] op_sel_hi:[1,1,0] neg_lo:[0,0,1] neg_hi:[0,0,1]
	v_pk_fma_f32 v[22:23], v[22:23], v[12:13], v[24:25] op_sel:[0,0,1] op_sel_hi:[1,0,0]
	v_mov_b32_e32 v18, v15
	v_mov_b32_e32 v27, v23
	v_pk_mul_f32 v[22:23], v[40:41], v[18:19] op_sel_hi:[1,0]
	v_mov_b32_e32 v37, v21
	v_pk_fma_f32 v[24:25], v[40:41], v[14:15], v[22:23] op_sel:[0,0,1] op_sel_hi:[1,1,0] neg_lo:[0,0,1] neg_hi:[0,0,1]
	v_pk_fma_f32 v[22:23], v[40:41], v[14:15], v[22:23] op_sel:[0,0,1] op_sel_hi:[1,0,0]
	s_nop 0
	v_mov_b32_e32 v25, v23
	v_pk_add_f32 v[22:23], v[16:17], v[26:27]
	v_pk_add_f32 v[28:29], v[26:27], v[24:25]
	;; [unrolled: 1-line block ×3, first 2 shown]
	v_pk_add_f32 v[24:25], v[26:27], v[24:25] neg_lo:[0,1] neg_hi:[0,1]
	v_pk_fma_f32 v[16:17], v[28:29], 0.5, v[16:17] op_sel_hi:[1,0,1] neg_lo:[1,0,0] neg_hi:[1,0,0]
	v_pk_mul_f32 v[24:25], v[24:25], s[12:13] op_sel_hi:[1,0]
	s_nop 0
	v_pk_add_f32 v[26:27], v[16:17], v[24:25] op_sel:[0,1] op_sel_hi:[1,0]
	v_pk_add_f32 v[16:17], v[16:17], v[24:25] op_sel:[0,1] op_sel_hi:[1,0] neg_lo:[0,1] neg_hi:[0,1]
	v_mov_b32_e32 v24, v26
	v_mov_b32_e32 v25, v17
	;; [unrolled: 1-line block ×3, first 2 shown]
	ds_write2_b64 v174, v[22:23], v[24:25] offset1:13
	ds_write_b64 v174, v[16:17] offset:208
	s_and_saveexec_b64 s[12:13], s[0:1]
	s_cbranch_execz .LBB0_11
; %bb.10:
	v_add_u32_sdwa v16, v175, v170 dst_sel:DWORD dst_unused:UNUSED_PAD src0_sel:DWORD src1_sel:BYTE_0
	v_add_lshl_u32 v18, v158, v16, 3
	v_pk_add_f32 v[16:17], v[32:33], v[42:43]
	v_mov_b32_e32 v21, v19
	v_pk_add_f32 v[16:17], v[16:17], v[44:45]
	ds_write2_b64 v18, v[16:17], v[20:21] offset1:13
	ds_write_b64 v18, v[36:37] offset:208
.LBB0_11:
	s_or_b64 exec, exec, s[12:13]
	s_movk_i32 s12, 0x50
	v_mov_b64_e32 v[16:17], s[10:11]
	v_mad_u64_u32 v[40:41], s[10:11], v66, s12, v[16:17]
	s_waitcnt lgkmcnt(0)
	s_barrier
	global_load_dwordx4 v[16:19], v[40:41], off offset:272
	global_load_dwordx4 v[32:35], v[40:41], off offset:224
	global_load_dwordx4 v[28:31], v[40:41], off offset:240
	global_load_dwordx4 v[24:27], v[40:41], off offset:256
	global_load_dwordx4 v[20:23], v[40:41], off offset:208
	v_add_u32_e32 v56, 0x800, v168
	ds_read2_b64 v[40:43], v168 offset1:39
	ds_read2_b64 v[44:47], v168 offset0:117 offset1:156
	ds_read2_b64 v[48:51], v168 offset0:195 offset1:234
	ds_read_b64 v[60:61], v168 offset:624
	ds_read2_b64 v[52:55], v56 offset0:95 offset1:134
	ds_read2_b64 v[56:59], v56 offset0:17 offset1:56
	s_mov_b32 s14, 0xbf4178ce
	s_mov_b32 s12, 0xbf27a4f4
	;; [unrolled: 1-line block ×14, first 2 shown]
	v_lshl_add_u32 v169, v66, 3, v67
	s_waitcnt vmcnt(4) lgkmcnt(1)
	v_pk_mul_f32 v[68:69], v[54:55], v[18:19] op_sel:[1,0] op_sel_hi:[0,1]
	s_waitcnt vmcnt(3)
	v_mov_b32_e32 v68, v35
	s_waitcnt vmcnt(2)
	v_pk_mul_f32 v[70:71], v[48:49], v[28:29] op_sel:[0,1]
	v_mov_b32_e32 v72, v31
	s_waitcnt vmcnt(1) lgkmcnt(0)
	v_pk_mul_f32 v[74:75], v[56:57], v[24:25] op_sel:[0,1]
	s_waitcnt vmcnt(0)
	v_pk_mul_f32 v[76:77], v[42:43], v[20:21] op_sel:[0,1]
	v_mov_b32_e32 v78, v23
	v_pk_mul_f32 v[80:81], v[44:45], v[32:33] op_sel:[0,1]
	v_mov_b32_e32 v82, v27
	;; [unrolled: 2-line block ×3, first 2 shown]
	v_pk_mul_f32 v[68:69], v[46:47], v[68:69] op_sel_hi:[1,0]
	v_pk_fma_f32 v[88:89], v[48:49], v[28:29], v[70:71] op_sel:[0,0,1] op_sel_hi:[1,1,0] neg_lo:[0,0,1] neg_hi:[0,0,1]
	v_pk_fma_f32 v[48:49], v[48:49], v[28:29], v[70:71] op_sel:[0,0,1] op_sel_hi:[1,0,0]
	v_pk_mul_f32 v[70:71], v[50:51], v[72:73] op_sel_hi:[1,0]
	v_pk_fma_f32 v[72:73], v[56:57], v[24:25], v[74:75] op_sel:[0,0,1] op_sel_hi:[1,1,0] neg_lo:[0,0,1] neg_hi:[0,0,1]
	v_pk_fma_f32 v[56:57], v[56:57], v[24:25], v[74:75] op_sel:[0,0,1] op_sel_hi:[1,0,0]
	v_pk_fma_f32 v[74:75], v[42:43], v[20:21], v[76:77] op_sel:[0,0,1] op_sel_hi:[1,0,0] neg_lo:[0,0,1] neg_hi:[0,0,1]
	v_pk_fma_f32 v[42:43], v[42:43], v[20:21], v[76:77] op_sel:[0,0,1] op_sel_hi:[1,0,0]
	v_pk_mul_f32 v[76:77], v[60:61], v[78:79] op_sel_hi:[1,0]
	v_pk_fma_f32 v[78:79], v[44:45], v[32:33], v[80:81] op_sel:[0,0,1] op_sel_hi:[1,1,0] neg_lo:[0,0,1] neg_hi:[0,0,1]
	v_pk_fma_f32 v[44:45], v[44:45], v[32:33], v[80:81] op_sel:[0,0,1] op_sel_hi:[1,0,0]
	v_pk_mul_f32 v[80:81], v[58:59], v[82:83] op_sel_hi:[1,0]
	v_pk_fma_f32 v[82:83], v[52:53], v[16:17], v[84:85] op_sel:[0,0,1] op_sel_hi:[1,1,0] neg_lo:[0,0,1] neg_hi:[0,0,1]
	v_pk_fma_f32 v[52:53], v[52:53], v[16:17], v[84:85] op_sel:[0,0,1] op_sel_hi:[1,0,0]
	v_pk_fma_f32 v[84:85], v[46:47], v[34:35], v[68:69] op_sel:[0,0,1] op_sel_hi:[1,1,0] neg_lo:[0,0,1] neg_hi:[0,0,1]
	v_pk_fma_f32 v[46:47], v[46:47], v[34:35], v[68:69] op_sel:[0,0,1] op_sel_hi:[1,0,0]
	v_mov_b32_e32 v73, v57
	v_mov_b32_e32 v56, v74
	;; [unrolled: 1-line block ×3, first 2 shown]
	v_pk_fma_f32 v[68:69], v[60:61], v[22:23], v[76:77] op_sel:[0,0,1] op_sel_hi:[1,1,0] neg_lo:[0,0,1] neg_hi:[0,0,1]
	v_pk_fma_f32 v[60:61], v[60:61], v[22:23], v[76:77] op_sel:[0,0,1] op_sel_hi:[1,0,0]
	v_mov_b32_e32 v85, v47
	v_mov_b32_e32 v69, v61
	v_pk_add_f32 v[46:47], v[40:41], v[56:57]
	v_mov_b32_e32 v79, v45
	v_pk_add_f32 v[46:47], v[46:47], v[68:69]
	;; [unrolled: 2-line block ×3, first 2 shown]
	v_pk_fma_f32 v[48:49], v[50:51], v[30:31], v[70:71] op_sel:[0,0,1] op_sel_hi:[1,1,0] neg_lo:[0,0,1] neg_hi:[0,0,1]
	v_pk_fma_f32 v[50:51], v[50:51], v[30:31], v[70:71] op_sel:[0,0,1] op_sel_hi:[1,0,0]
	v_pk_add_f32 v[46:47], v[46:47], v[84:85]
	v_mov_b32_e32 v49, v51
	v_pk_add_f32 v[46:47], v[46:47], v[88:89]
	v_mov_b32_e32 v62, v19
	v_pk_add_f32 v[46:47], v[46:47], v[48:49]
	v_pk_fma_f32 v[44:45], v[58:59], v[26:27], v[80:81] op_sel:[0,0,1] op_sel_hi:[1,1,0] neg_lo:[0,0,1] neg_hi:[0,0,1]
	v_pk_fma_f32 v[58:59], v[58:59], v[26:27], v[80:81] op_sel:[0,0,1] op_sel_hi:[1,0,0]
	v_pk_add_f32 v[46:47], v[46:47], v[72:73]
	v_pk_add_f32 v[102:103], v[84:85], v[72:73]
	v_pk_add_f32 v[72:73], v[84:85], v[72:73] neg_lo:[0,1] neg_hi:[0,1]
	v_pk_mul_f32 v[62:63], v[54:55], v[62:63] op_sel:[1,0] op_sel_hi:[0,1]
	v_mov_b32_e32 v83, v53
	v_mov_b32_e32 v45, v59
	v_pk_mul_f32 v[84:85], v[72:73], s[14:15] op_sel:[1,0] op_sel_hi:[0,0]
	v_pk_fma_f32 v[62:63], v[54:55], v[18:19], v[62:63] neg_lo:[0,0,1] neg_hi:[0,0,1]
	v_pk_add_f32 v[58:59], v[68:69], v[82:83] neg_lo:[0,1] neg_hi:[0,1]
	v_pk_add_f32 v[50:51], v[78:79], v[44:45]
	v_pk_add_f32 v[46:47], v[46:47], v[44:45]
	v_pk_add_f32 v[44:45], v[78:79], v[44:45] neg_lo:[0,1] neg_hi:[0,1]
	v_pk_fma_f32 v[104:105], v[102:103], s[12:13], v[84:85] op_sel_hi:[1,0,1]
	v_pk_fma_f32 v[84:85], v[102:103], s[12:13], v[84:85] op_sel_hi:[1,0,1] neg_lo:[0,0,1] neg_hi:[0,0,1]
	v_pk_fma_f32 v[54:55], v[54:55], v[18:19], v[86:87] op_sel:[1,0,0] op_sel_hi:[0,1,1]
	v_mov_b32_e32 v52, v62
	v_pk_add_f32 v[56:57], v[68:69], v[82:83]
	v_pk_mul_f32 v[60:61], v[58:59], s[26:27] op_sel:[1,0] op_sel_hi:[0,0]
	v_pk_mul_f32 v[96:97], v[44:45], s[20:21] op_sel:[1,0] op_sel_hi:[0,0]
	v_mov_b32_e32 v106, v104
	v_mov_b32_e32 v107, v85
	v_pk_mul_f32 v[108:109], v[72:73], s[30:31] op_sel:[1,0] op_sel_hi:[0,0]
	v_pk_mul_f32 v[114:115], v[72:73], s[34:35] op_sel:[1,0] op_sel_hi:[0,0]
	;; [unrolled: 1-line block ×3, first 2 shown]
	v_mov_b32_e32 v85, v105
	v_pk_add_f32 v[104:105], v[74:75], v[62:63]
	v_pk_add_f32 v[62:63], v[74:75], v[62:63] neg_lo:[0,1] neg_hi:[0,1]
	v_pk_fma_f32 v[70:71], v[56:57], s[10:11], v[60:61] op_sel_hi:[1,0,1]
	v_pk_fma_f32 v[60:61], v[56:57], s[10:11], v[60:61] op_sel_hi:[1,0,1] neg_lo:[0,0,1] neg_hi:[0,0,1]
	v_pk_fma_f32 v[98:99], v[50:51], s[10:11], v[96:97] op_sel_hi:[1,0,1]
	v_pk_fma_f32 v[96:97], v[50:51], s[10:11], v[96:97] op_sel_hi:[1,0,1] neg_lo:[0,0,1] neg_hi:[0,0,1]
	v_pk_fma_f32 v[110:111], v[102:103], s[18:19], v[108:109] op_sel_hi:[1,0,1]
	v_pk_fma_f32 v[108:109], v[102:103], s[18:19], v[108:109] op_sel_hi:[1,0,1] neg_lo:[0,0,1] neg_hi:[0,0,1]
	v_pk_fma_f32 v[116:117], v[102:103], s[28:29], v[114:115] op_sel_hi:[1,0,1]
	v_pk_fma_f32 v[114:115], v[102:103], s[28:29], v[114:115] op_sel_hi:[1,0,1] neg_lo:[0,0,1] neg_hi:[0,0,1]
	v_pk_fma_f32 v[122:123], v[102:103], s[22:23], v[120:121] op_sel_hi:[1,0,1]
	v_pk_fma_f32 v[120:121], v[102:103], s[22:23], v[120:121] op_sel_hi:[1,0,1] neg_lo:[0,0,1] neg_hi:[0,0,1]
	v_pk_mul_f32 v[102:103], v[102:103], s[10:11] op_sel_hi:[1,0]
	v_mov_b32_e32 v105, v62
	v_pk_add_f32 v[74:75], v[42:43], v[54:55] op_sel:[1,0] neg_lo:[0,1] neg_hi:[0,1]
	v_pk_add_f32 v[42:43], v[42:43], v[54:55] op_sel_hi:[1,0]
	s_mov_b32 s11, s26
	v_mov_b32_e32 v53, v54
	v_mov_b32_e32 v42, v74
	s_mov_b32 s27, s10
	v_pk_mul_f32 v[54:55], v[104:105], s[10:11]
	v_pk_mul_f32 v[68:69], v[58:59], s[14:15] op_sel:[1,0] op_sel_hi:[0,0]
	v_pk_fma_f32 v[128:129], v[74:75], s[26:27], v[54:55] neg_lo:[1,0,0] neg_hi:[1,0,0]
	v_pk_fma_f32 v[130:131], v[42:43], s[26:27], v[54:55]
	v_pk_fma_f32 v[54:55], v[42:43], s[26:27], v[54:55] neg_lo:[0,0,1] neg_hi:[0,0,1]
	v_pk_fma_f32 v[76:77], v[56:57], s[12:13], v[68:69] op_sel_hi:[1,0,1]
	v_pk_fma_f32 v[80:81], v[56:57], s[12:13], v[68:69] op_sel_hi:[1,0,1] neg_lo:[0,0,1] neg_hi:[0,0,1]
	v_pk_add_f32 v[46:47], v[46:47], v[82:83]
	v_pk_fma_f32 v[126:127], v[72:73], s[20:21], v[102:103] op_sel:[1,0,0] op_sel_hi:[0,0,1] neg_lo:[1,0,0] neg_hi:[1,0,0]
	v_pk_fma_f32 v[72:73], v[72:73], s[20:21], v[102:103] op_sel:[1,0,0] op_sel_hi:[0,0,1]
	v_mov_b32_e32 v129, v131
	v_mov_b32_e32 v134, v74
	;; [unrolled: 1-line block ×6, first 2 shown]
	v_pk_add_f32 v[68:69], v[46:47], v[52:53]
	v_pk_mul_f32 v[46:47], v[44:45], s[16:17] op_sel:[1,0] op_sel_hi:[0,0]
	v_pk_mul_f32 v[82:83], v[44:45], s[24:25] op_sel:[1,0] op_sel_hi:[0,0]
	v_mov_b32_e32 v102, v126
	v_mov_b32_e32 v103, v73
	;; [unrolled: 1-line block ×3, first 2 shown]
	v_pk_add_f32 v[126:127], v[88:89], v[48:49]
	v_pk_add_f32 v[88:89], v[88:89], v[48:49] neg_lo:[0,1] neg_hi:[0,1]
	v_mov_b32_e32 v132, v104
	v_mov_b32_e32 v133, v43
	v_pk_mul_f32 v[62:63], v[134:135], s[34:35] op_sel_hi:[1,0]
	v_pk_add_f32 v[54:55], v[40:41], v[130:131]
	v_pk_fma_f32 v[52:53], v[50:51], s[18:19], v[46:47] op_sel_hi:[1,0,1]
	v_pk_fma_f32 v[46:47], v[50:51], s[18:19], v[46:47] op_sel_hi:[1,0,1] neg_lo:[0,0,1] neg_hi:[0,0,1]
	v_pk_fma_f32 v[92:93], v[50:51], s[22:23], v[82:83] op_sel_hi:[1,0,1]
	v_pk_fma_f32 v[82:83], v[50:51], s[22:23], v[82:83] op_sel_hi:[1,0,1] neg_lo:[0,0,1] neg_hi:[0,0,1]
	v_pk_mul_f32 v[48:49], v[88:89], s[36:37] op_sel:[1,0] op_sel_hi:[0,0]
	v_pk_fma_f32 v[134:135], v[132:133], s[28:29], v[62:63] op_sel_hi:[1,0,1]
	v_pk_fma_f32 v[62:63], v[132:133], s[28:29], v[62:63] op_sel_hi:[1,0,1] neg_lo:[0,0,1] neg_hi:[0,0,1]
	v_pk_add_f32 v[54:55], v[90:91], v[54:55]
	v_pk_mul_f32 v[90:91], v[44:45], s[14:15] op_sel:[1,0] op_sel_hi:[0,0]
	v_mov_b32_e32 v78, v52
	v_mov_b32_e32 v79, v47
	;; [unrolled: 1-line block ×5, first 2 shown]
	v_pk_fma_f32 v[52:53], v[126:127], s[22:23], v[48:49] op_sel_hi:[1,0,1] neg_lo:[0,0,1] neg_hi:[0,0,1]
	v_pk_fma_f32 v[48:49], v[126:127], s[22:23], v[48:49] op_sel_hi:[1,0,1]
	v_mov_b32_e32 v132, v134
	v_mov_b32_e32 v133, v63
	v_pk_add_f32 v[128:129], v[40:41], v[128:129]
	v_mov_b32_e32 v81, v77
	v_mov_b32_e32 v83, v93
	v_pk_fma_f32 v[92:93], v[50:51], s[12:13], v[90:91] op_sel_hi:[1,0,1] neg_lo:[0,0,1] neg_hi:[0,0,1]
	v_pk_fma_f32 v[90:91], v[50:51], s[12:13], v[90:91] op_sel_hi:[1,0,1]
	s_mov_b32 s23, s36
	v_mov_b32_e32 v86, v70
	v_mov_b32_e32 v87, v61
	v_pk_add_f32 v[132:133], v[40:41], v[132:133]
	v_pk_add_f32 v[76:77], v[80:81], v[128:129]
	;; [unrolled: 1-line block ×3, first 2 shown]
	v_pk_mul_f32 v[80:81], v[58:59], s[38:39] op_sel:[1,0] op_sel_hi:[0,0]
	v_mov_b32_e32 v94, v92
	v_mov_b32_e32 v95, v91
	v_mov_b32_e32 v91, v93
	s_mov_b32 s37, s22
	v_pk_mul_f32 v[92:93], v[104:105], s[22:23]
	v_pk_add_f32 v[86:87], v[86:87], v[132:133]
	v_pk_add_f32 v[76:77], v[82:83], v[76:77]
	v_pk_fma_f32 v[82:83], v[56:57], s[28:29], v[80:81] op_sel_hi:[1,0,1] neg_lo:[0,0,1] neg_hi:[0,0,1]
	v_pk_fma_f32 v[80:81], v[56:57], s[28:29], v[80:81] op_sel_hi:[1,0,1]
	v_pk_fma_f32 v[128:129], v[74:75], s[36:37], v[92:93] neg_lo:[1,0,0] neg_hi:[1,0,0]
	v_pk_fma_f32 v[130:131], v[42:43], s[36:37], v[92:93]
	v_pk_add_f32 v[78:79], v[78:79], v[86:87]
	v_mov_b32_e32 v86, v82
	v_mov_b32_e32 v87, v81
	;; [unrolled: 1-line block ×4, first 2 shown]
	v_pk_fma_f32 v[82:83], v[42:43], s[36:37], v[92:93] neg_lo:[0,0,1] neg_hi:[0,0,1]
	v_pk_add_f32 v[128:129], v[40:41], v[128:129]
	v_mov_b32_e32 v131, v83
	v_pk_add_f32 v[86:87], v[86:87], v[128:129]
	v_pk_add_f32 v[82:83], v[40:41], v[130:131]
	v_pk_mul_f32 v[44:45], v[44:45], s[34:35] op_sel:[1,0] op_sel_hi:[0,0]
	v_pk_add_f32 v[80:81], v[80:81], v[82:83]
	v_pk_add_f32 v[82:83], v[94:95], v[86:87]
	v_pk_mul_f32 v[86:87], v[58:59], s[30:31] op_sel:[1,0] op_sel_hi:[0,0]
	v_pk_add_f32 v[80:81], v[90:91], v[80:81]
	v_pk_fma_f32 v[90:91], v[56:57], s[18:19], v[86:87] op_sel_hi:[1,0,1] neg_lo:[0,0,1] neg_hi:[0,0,1]
	v_pk_fma_f32 v[86:87], v[56:57], s[18:19], v[86:87] op_sel_hi:[1,0,1]
	v_mov_b32_e32 v92, v90
	v_mov_b32_e32 v93, v87
	;; [unrolled: 1-line block ×3, first 2 shown]
	v_pk_fma_f32 v[90:91], v[50:51], s[28:29], v[44:45] op_sel_hi:[1,0,1] neg_lo:[0,0,1] neg_hi:[0,0,1]
	v_pk_fma_f32 v[44:45], v[50:51], s[28:29], v[44:45] op_sel_hi:[1,0,1]
	s_mov_b32 s13, s14
	v_mov_b32_e32 v50, v90
	v_mov_b32_e32 v51, v45
	;; [unrolled: 1-line block ×3, first 2 shown]
	s_mov_b32 s15, s12
	v_pk_mul_f32 v[90:91], v[104:105], s[12:13]
	v_pk_add_f32 v[78:79], v[106:107], v[78:79]
	v_pk_fma_f32 v[94:95], v[74:75], s[14:15], v[90:91] neg_lo:[1,0,0] neg_hi:[1,0,0]
	v_pk_fma_f32 v[106:107], v[42:43], s[14:15], v[90:91]
	v_pk_fma_f32 v[90:91], v[42:43], s[14:15], v[90:91] neg_lo:[0,0,1] neg_hi:[0,0,1]
	v_mov_b32_e32 v95, v107
	v_mov_b32_e32 v107, v91
	v_pk_add_f32 v[90:91], v[40:41], v[106:107]
	v_pk_add_f32 v[94:95], v[40:41], v[94:95]
	;; [unrolled: 1-line block ×3, first 2 shown]
	v_mov_b32_e32 v124, v122
	v_mov_b32_e32 v125, v121
	v_pk_add_f32 v[92:93], v[92:93], v[94:95]
	v_pk_add_f32 v[44:45], v[44:45], v[86:87]
	v_mov_b32_e32 v63, v135
	v_mov_b32_e32 v61, v71
	;; [unrolled: 1-line block ×5, first 2 shown]
	v_pk_mul_f32 v[52:53], v[88:89], s[38:39] op_sel:[1,0] op_sel_hi:[0,0]
	v_mov_b32_e32 v121, v123
	v_pk_add_f32 v[50:51], v[50:51], v[92:93]
	v_pk_add_f32 v[90:91], v[124:125], v[44:45]
	;; [unrolled: 1-line block ×3, first 2 shown]
	v_mov_b32_e32 v112, v110
	v_mov_b32_e32 v113, v109
	v_pk_add_f32 v[86:87], v[120:121], v[50:51]
	v_pk_add_f32 v[44:45], v[60:61], v[44:45]
	;; [unrolled: 1-line block ×3, first 2 shown]
	v_pk_fma_f32 v[48:49], v[126:127], s[28:29], v[52:53] op_sel_hi:[1,0,1] neg_lo:[0,0,1] neg_hi:[0,0,1]
	v_pk_fma_f32 v[52:53], v[126:127], s[28:29], v[52:53] op_sel_hi:[1,0,1]
	v_pk_add_f32 v[54:55], v[112:113], v[54:55]
	v_pk_add_f32 v[44:45], v[46:47], v[44:45]
	v_mov_b32_e32 v47, v53
	v_mov_b32_e32 v53, v49
	v_mov_b32_e32 v46, v48
	v_pk_add_f32 v[48:49], v[52:53], v[54:55]
	v_pk_mul_f32 v[54:55], v[58:59], s[24:25] op_sel:[1,0] op_sel_hi:[0,0]
	v_pk_fma_f32 v[58:59], v[56:57], s[22:23], v[54:55] op_sel_hi:[1,0,1] neg_lo:[0,0,1] neg_hi:[0,0,1]
	v_pk_fma_f32 v[54:55], v[56:57], s[22:23], v[54:55] op_sel_hi:[1,0,1]
	s_mov_b32 s19, s16
	v_mov_b32_e32 v56, v58
	v_mov_b32_e32 v57, v55
	;; [unrolled: 1-line block ×3, first 2 shown]
	s_mov_b32 s17, s18
	v_pk_mul_f32 v[58:59], v[104:105], s[18:19]
	v_mov_b32_e32 v100, v98
	v_pk_fma_f32 v[60:61], v[74:75], s[16:17], v[58:59] neg_lo:[1,0,0] neg_hi:[1,0,0]
	v_pk_fma_f32 v[62:63], v[42:43], s[16:17], v[58:59]
	v_pk_fma_f32 v[42:43], v[42:43], s[16:17], v[58:59] neg_lo:[0,0,1] neg_hi:[0,0,1]
	v_mov_b32_e32 v61, v63
	v_mov_b32_e32 v63, v43
	v_pk_add_f32 v[58:59], v[40:41], v[60:61]
	v_pk_add_f32 v[40:41], v[40:41], v[62:63]
	v_mov_b32_e32 v101, v97
	v_pk_mul_f32 v[52:53], v[88:89], s[14:15] op_sel:[1,0] op_sel_hi:[0,0]
	v_pk_add_f32 v[40:41], v[54:55], v[40:41]
	v_mov_b32_e32 v118, v116
	v_mov_b32_e32 v119, v115
	v_mov_b32_e32 v97, v99
	v_pk_add_f32 v[42:43], v[56:57], v[58:59]
	v_pk_add_f32 v[40:41], v[100:101], v[40:41]
	v_pk_fma_f32 v[54:55], v[126:127], s[12:13], v[52:53] op_sel_hi:[1,0,1] neg_lo:[0,0,1] neg_hi:[0,0,1]
	v_pk_fma_f32 v[56:57], v[126:127], s[12:13], v[52:53] op_sel_hi:[1,0,1]
	v_mov_b32_e32 v115, v117
	v_pk_add_f32 v[42:43], v[96:97], v[42:43]
	v_pk_add_f32 v[40:41], v[118:119], v[40:41]
	v_mov_b32_e32 v53, v57
	v_mov_b32_e32 v57, v55
	v_pk_add_f32 v[42:43], v[114:115], v[42:43]
	v_mov_b32_e32 v52, v54
	v_pk_add_f32 v[58:59], v[56:57], v[40:41]
	v_pk_mul_f32 v[40:41], v[126:127], s[10:11] op_sel_hi:[1,0]
	v_pk_add_f32 v[52:53], v[52:53], v[42:43]
	v_pk_fma_f32 v[42:43], v[88:89], s[20:21], v[40:41] op_sel:[1,0,0] op_sel_hi:[0,0,1] neg_lo:[1,0,0] neg_hi:[1,0,0]
	v_pk_fma_f32 v[40:41], v[88:89], s[20:21], v[40:41] op_sel:[1,0,0] op_sel_hi:[0,0,1]
	v_mov_b32_e32 v55, v41
	v_mov_b32_e32 v41, v43
	v_pk_add_f32 v[56:57], v[40:41], v[90:91]
	v_pk_mul_f32 v[40:41], v[126:127], s[18:19] op_sel_hi:[1,0]
	v_mov_b32_e32 v109, v111
	v_mov_b32_e32 v54, v42
	v_pk_fma_f32 v[42:43], v[88:89], s[16:17], v[40:41] op_sel:[1,0,0] op_sel_hi:[0,0,1] neg_lo:[1,0,0] neg_hi:[1,0,0]
	v_pk_fma_f32 v[40:41], v[88:89], s[16:17], v[40:41] op_sel:[1,0,0] op_sel_hi:[0,0,1]
	v_pk_add_f32 v[76:77], v[108:109], v[76:77]
	v_pk_add_f32 v[82:83], v[102:103], v[82:83]
	v_pk_add_f32 v[72:73], v[72:73], v[80:81]
	v_pk_add_f32 v[44:45], v[84:85], v[44:45]
	v_mov_b32_e32 v60, v42
	v_mov_b32_e32 v61, v41
	v_mov_b32_e32 v41, v43
	v_pk_add_f32 v[44:45], v[70:71], v[44:45]
	v_pk_add_f32 v[46:47], v[46:47], v[76:77]
	;; [unrolled: 1-line block ×5, first 2 shown]
	v_add_u32_e32 v40, 0x800, v169
	ds_write_b64 v169, v[68:69]
	ds_write2_b64 v169, v[44:45], v[46:47] offset0:39 offset1:78
	ds_write2_b64 v169, v[52:53], v[54:55] offset0:117 offset1:156
	ds_write2_b64 v169, v[60:61], v[62:63] offset0:195 offset1:234
	ds_write2_b64 v40, v[56:57], v[58:59] offset0:17 offset1:56
	ds_write2_b64 v40, v[48:49], v[50:51] offset0:95 offset1:134
	s_waitcnt lgkmcnt(0)
	s_barrier
	s_and_saveexec_b64 s[10:11], vcc
	s_cbranch_execz .LBB0_13
; %bb.12:
	global_load_dwordx2 v[42:43], v65, s[2:3] offset:3432
	s_add_u32 s12, s2, 0xd68
	s_addc_u32 s13, s3, 0
	global_load_dwordx2 v[94:95], v65, s[12:13] offset:264
	global_load_dwordx2 v[96:97], v65, s[12:13] offset:528
	;; [unrolled: 1-line block ×12, first 2 shown]
	ds_read_b64 v[70:71], v169
	v_add_u32_e32 v41, 0x400, v169
	s_waitcnt vmcnt(12) lgkmcnt(0)
	v_mul_f32_e32 v72, v71, v43
	v_mul_f32_e32 v73, v70, v43
	v_fma_f32 v72, v70, v42, -v72
	v_fmac_f32_e32 v73, v71, v42
	ds_write_b64 v169, v[72:73]
	ds_read2_b64 v[70:73], v169 offset0:33 offset1:66
	ds_read2_b64 v[74:77], v169 offset0:99 offset1:132
	ds_read2_b64 v[78:81], v169 offset0:165 offset1:198
	ds_read2_b64 v[82:85], v41 offset0:103 offset1:136
	ds_read2_b64 v[86:89], v40 offset0:41 offset1:74
	ds_read2_b64 v[90:93], v40 offset0:107 offset1:140
	s_waitcnt vmcnt(11) lgkmcnt(5)
	v_mul_f32_e32 v42, v71, v95
	v_mul_f32_e32 v43, v70, v95
	s_waitcnt vmcnt(10)
	v_mul_f32_e32 v118, v73, v97
	v_mul_f32_e32 v95, v72, v97
	s_waitcnt vmcnt(9) lgkmcnt(4)
	v_mul_f32_e32 v119, v75, v99
	v_mul_f32_e32 v97, v74, v99
	s_waitcnt vmcnt(8)
	v_mul_f32_e32 v120, v77, v101
	v_mul_f32_e32 v99, v76, v101
	s_waitcnt vmcnt(7) lgkmcnt(3)
	v_mul_f32_e32 v121, v79, v103
	v_mul_f32_e32 v101, v78, v103
	s_waitcnt vmcnt(6)
	v_mul_f32_e32 v122, v81, v105
	v_mul_f32_e32 v103, v80, v105
	s_waitcnt vmcnt(5) lgkmcnt(2)
	v_mul_f32_e32 v123, v83, v107
	v_mul_f32_e32 v105, v82, v107
	s_waitcnt vmcnt(4)
	v_mul_f32_e32 v124, v85, v109
	v_mul_f32_e32 v107, v84, v109
	s_waitcnt vmcnt(3) lgkmcnt(1)
	v_mul_f32_e32 v125, v87, v111
	v_mul_f32_e32 v109, v86, v111
	s_waitcnt vmcnt(2)
	v_mul_f32_e32 v126, v89, v113
	v_mul_f32_e32 v111, v88, v113
	s_waitcnt vmcnt(1) lgkmcnt(0)
	v_mul_f32_e32 v127, v91, v115
	v_mul_f32_e32 v113, v90, v115
	s_waitcnt vmcnt(0)
	v_mul_f32_e32 v128, v93, v117
	v_mul_f32_e32 v115, v92, v117
	v_fma_f32 v42, v70, v94, -v42
	v_fmac_f32_e32 v43, v71, v94
	v_fma_f32 v94, v72, v96, -v118
	v_fmac_f32_e32 v95, v73, v96
	;; [unrolled: 2-line block ×12, first 2 shown]
	ds_write2_b64 v169, v[42:43], v[94:95] offset0:33 offset1:66
	ds_write2_b64 v169, v[96:97], v[98:99] offset0:99 offset1:132
	;; [unrolled: 1-line block ×6, first 2 shown]
.LBB0_13:
	s_or_b64 exec, exec, s[10:11]
	s_waitcnt lgkmcnt(0)
	s_barrier
	s_and_saveexec_b64 s[10:11], vcc
	s_cbranch_execz .LBB0_15
; %bb.14:
	ds_read_b64 v[68:69], v169
	ds_read2_b64 v[44:47], v169 offset0:33 offset1:66
	ds_read2_b64 v[52:55], v169 offset0:99 offset1:132
	;; [unrolled: 1-line block ×3, first 2 shown]
	v_add_u32_e32 v36, 0x400, v169
	ds_read2_b64 v[56:59], v36 offset0:103 offset1:136
	v_add_u32_e32 v36, 0x800, v169
	ds_read2_b64 v[48:51], v36 offset0:41 offset1:74
	ds_read2_b64 v[36:39], v36 offset0:107 offset1:140
.LBB0_15:
	s_or_b64 exec, exec, s[10:11]
	s_waitcnt lgkmcnt(0)
	v_pk_add_f32 v[40:41], v[44:45], v[38:39] neg_lo:[0,1] neg_hi:[0,1]
	v_pk_add_f32 v[94:95], v[44:45], v[38:39]
	v_mov_b32_e32 v73, v40
	v_mov_b32_e32 v72, v94
	v_mov_b32_e32 v94, v41
	v_pk_add_f32 v[40:41], v[46:47], v[36:37] neg_lo:[0,1] neg_hi:[0,1]
	v_pk_add_f32 v[92:93], v[46:47], v[36:37]
	v_mov_b32_e32 v75, v40
	v_mov_b32_e32 v74, v92
	v_mov_b32_e32 v92, v41
	;; [unrolled: 5-line block ×3, first 2 shown]
	v_pk_add_f32 v[40:41], v[54:55], v[48:49] neg_lo:[0,1] neg_hi:[0,1]
	v_pk_add_f32 v[88:89], v[54:55], v[48:49]
	s_mov_b32 s30, 0xbf52af12
	v_mov_b32_e32 v78, v88
	v_mov_b32_e32 v79, v40
	;; [unrolled: 1-line block ×3, first 2 shown]
	v_pk_add_f32 v[40:41], v[60:61], v[58:59] neg_lo:[0,1] neg_hi:[0,1]
	v_pk_add_f32 v[86:87], v[60:61], v[58:59]
	s_mov_b32 s31, 0x3f116cb1
	s_mov_b32 s22, 0xbf6f5d39
	v_mov_b32_e32 v80, v86
	v_mov_b32_e32 v81, v40
	;; [unrolled: 1-line block ×3, first 2 shown]
	v_pk_add_f32 v[40:41], v[62:63], v[56:57] neg_lo:[0,1] neg_hi:[0,1]
	v_pk_add_f32 v[84:85], v[62:63], v[56:57]
	v_pk_mul_f32 v[98:99], v[94:95], s[30:31]
	s_mov_b32 s10, s31
	s_mov_b32 s11, s30
	;; [unrolled: 1-line block ×3, first 2 shown]
	v_mov_b32_e32 v82, v84
	v_mov_b32_e32 v83, v40
	v_mov_b32_e32 v84, v41
	v_pk_fma_f32 v[40:41], v[72:73], s[10:11], v[98:99] neg_lo:[0,0,1] neg_hi:[0,0,1]
	v_pk_fma_f32 v[96:97], v[72:73], s[10:11], v[98:99]
	v_pk_mul_f32 v[102:103], v[92:93], s[22:23]
	s_mov_b32 s12, s23
	s_mov_b32 s13, s22
	;; [unrolled: 1-line block ×3, first 2 shown]
	v_mov_b32_e32 v41, v97
	v_pk_fma_f32 v[42:43], v[74:75], s[12:13], v[102:103] neg_lo:[0,0,1] neg_hi:[0,0,1]
	v_pk_fma_f32 v[100:101], v[74:75], s[12:13], v[102:103]
	s_mov_b32 s29, 0xbf788fa5
	v_pk_add_f32 v[40:41], v[68:69], v[40:41]
	v_mov_b32_e32 v43, v101
	v_pk_mul_f32 v[104:105], v[90:91], s[28:29]
	s_mov_b32 s14, s29
	s_mov_b32 s15, s28
	s_mov_b32 s34, 0x3f29c268
	v_pk_add_f32 v[40:41], v[42:43], v[40:41]
	v_pk_fma_f32 v[42:43], v[76:77], s[14:15], v[104:105] neg_lo:[0,0,1] neg_hi:[0,0,1]
	v_pk_fma_f32 v[106:107], v[76:77], s[14:15], v[104:105]
	s_mov_b32 s35, 0xbf3f9e67
	v_mov_b32_e32 v43, v107
	v_pk_mul_f32 v[108:109], v[88:89], s[34:35]
	s_mov_b32 s48, s35
	s_mov_b32 s49, s34
	s_mov_b32 s26, 0x3f7e222b
	v_pk_add_f32 v[40:41], v[42:43], v[40:41]
	v_pk_fma_f32 v[42:43], v[78:79], s[48:49], v[108:109] neg_lo:[0,0,1] neg_hi:[0,0,1]
	v_pk_fma_f32 v[110:111], v[78:79], s[48:49], v[108:109]
	s_mov_b32 s27, 0x3df6dbef
	v_mov_b32_e32 v43, v111
	v_pk_mul_f32 v[112:113], v[86:87], s[26:27]
	s_mov_b32 s18, s27
	s_mov_b32 s19, s26
	s_mov_b32 s36, 0x3eedf032
	v_pk_add_f32 v[40:41], v[42:43], v[40:41]
	v_pk_fma_f32 v[42:43], v[80:81], s[18:19], v[112:113] neg_lo:[0,0,1] neg_hi:[0,0,1]
	v_pk_fma_f32 v[114:115], v[80:81], s[18:19], v[112:113]
	s_mov_b32 s37, 0x3f62ad3f
	v_mov_b32_e32 v43, v115
	v_pk_mul_f32 v[116:117], v[84:85], s[36:37]
	s_mov_b32 s20, s37
	s_mov_b32 s21, s36
	v_pk_add_f32 v[40:41], v[42:43], v[40:41]
	v_pk_fma_f32 v[42:43], v[82:83], s[20:21], v[116:117] neg_lo:[0,0,1] neg_hi:[0,0,1]
	v_pk_fma_f32 v[118:119], v[82:83], s[20:21], v[116:117]
	s_mov_b32 s52, 0xbf7e222b
	s_mov_b32 s53, s27
	v_mov_b32_e32 v43, v119
	v_pk_mul_f32 v[120:121], v[94:95], s[52:53]
	s_mov_b32 s16, s27
	s_mov_b32 s17, s52
	v_pk_add_f32 v[42:43], v[42:43], v[40:41]
	v_pk_fma_f32 v[40:41], v[72:73], s[16:17], v[120:121] neg_lo:[0,0,1] neg_hi:[0,0,1]
	v_pk_fma_f32 v[122:123], v[72:73], s[16:17], v[120:121]
	v_pk_mul_f32 v[126:127], v[92:93], s[28:29]
	v_mov_b32_e32 v41, v123
	v_pk_fma_f32 v[70:71], v[74:75], s[14:15], v[126:127] neg_lo:[0,0,1] neg_hi:[0,0,1]
	v_pk_fma_f32 v[124:125], v[74:75], s[14:15], v[126:127]
	s_mov_b32 s24, 0x3f6f5d39
	s_mov_b32 s25, s23
	v_pk_add_f32 v[40:41], v[68:69], v[40:41]
	v_mov_b32_e32 v71, v125
	v_pk_mul_f32 v[128:129], v[90:91], s[24:25]
	s_mov_b32 s42, s23
	s_mov_b32 s43, s24
	v_pk_add_f32 v[40:41], v[70:71], v[40:41]
	v_pk_fma_f32 v[70:71], v[76:77], s[42:43], v[128:129] neg_lo:[0,0,1] neg_hi:[0,0,1]
	v_pk_fma_f32 v[130:131], v[76:77], s[42:43], v[128:129]
	v_pk_mul_f32 v[134:135], v[88:89], s[36:37]
	v_mov_b32_e32 v71, v131
	v_pk_add_f32 v[40:41], v[70:71], v[40:41]
	v_pk_fma_f32 v[70:71], v[78:79], s[20:21], v[134:135] neg_lo:[0,0,1] neg_hi:[0,0,1]
	v_pk_fma_f32 v[132:133], v[78:79], s[20:21], v[134:135]
	v_pk_mul_f32 v[138:139], v[86:87], s[30:31]
	v_mov_b32_e32 v71, v133
	v_pk_add_f32 v[40:41], v[70:71], v[40:41]
	v_pk_fma_f32 v[70:71], v[80:81], s[10:11], v[138:139] neg_lo:[0,0,1] neg_hi:[0,0,1]
	v_pk_fma_f32 v[136:137], v[80:81], s[10:11], v[138:139]
	s_mov_b32 s40, 0xbf29c268
	s_mov_b32 s41, s35
	v_mov_b32_e32 v71, v137
	v_pk_mul_f32 v[148:149], v[84:85], s[40:41]
	s_mov_b32 s24, s35
	s_mov_b32 s25, s40
	v_pk_add_f32 v[40:41], v[70:71], v[40:41]
	v_pk_fma_f32 v[70:71], v[82:83], s[24:25], v[148:149] neg_lo:[0,0,1] neg_hi:[0,0,1]
	v_pk_fma_f32 v[154:155], v[82:83], s[24:25], v[148:149]
	v_pk_mul_f32 v[142:143], v[94:95], s[22:23]
	v_mov_b32_e32 v71, v155
	v_pk_add_f32 v[40:41], v[70:71], v[40:41]
	v_pk_fma_f32 v[70:71], v[72:73], s[12:13], v[142:143] neg_lo:[0,0,1] neg_hi:[0,0,1]
	v_pk_fma_f32 v[140:141], v[72:73], s[12:13], v[142:143]
	v_pk_mul_f32 v[146:147], v[92:93], s[34:35]
	v_mov_b32_e32 v71, v141
	v_pk_fma_f32 v[150:151], v[74:75], s[48:49], v[146:147] neg_lo:[0,0,1] neg_hi:[0,0,1]
	v_pk_fma_f32 v[144:145], v[74:75], s[48:49], v[146:147]
	v_pk_add_f32 v[70:71], v[68:69], v[70:71]
	v_mov_b32_e32 v151, v145
	v_pk_mul_f32 v[152:153], v[90:91], s[36:37]
	v_pk_add_f32 v[70:71], v[150:151], v[70:71]
	v_pk_fma_f32 v[156:157], v[76:77], s[20:21], v[152:153] neg_lo:[0,0,1] neg_hi:[0,0,1]
	v_pk_fma_f32 v[150:151], v[76:77], s[20:21], v[152:153]
	v_pk_mul_f32 v[158:159], v[88:89], s[52:53]
	v_mov_b32_e32 v157, v151
	v_pk_add_f32 v[70:71], v[156:157], v[70:71]
	v_pk_fma_f32 v[160:161], v[78:79], s[16:17], v[158:159] neg_lo:[0,0,1] neg_hi:[0,0,1]
	v_pk_fma_f32 v[156:157], v[78:79], s[16:17], v[158:159]
	s_mov_b32 s50, 0x3e750f2a
	v_mov_b32_e32 v161, v157
	s_mov_b32 s51, s29
	v_pk_add_f32 v[70:71], v[160:161], v[70:71]
	v_pk_mul_f32 v[160:161], v[86:87], s[50:51]
	s_mov_b32 s38, s29
	s_mov_b32 s39, s50
	v_pk_fma_f32 v[164:165], v[80:81], s[38:39], v[160:161] neg_lo:[0,0,1] neg_hi:[0,0,1]
	v_pk_fma_f32 v[162:163], v[80:81], s[38:39], v[160:161]
	s_mov_b32 s46, 0x3f52af12
	v_mov_b32_e32 v165, v163
	s_mov_b32 s47, s31
	v_pk_add_f32 v[70:71], v[164:165], v[70:71]
	v_pk_mul_f32 v[164:165], v[84:85], s[46:47]
	s_mov_b32 s44, s31
	s_mov_b32 s45, s46
	v_pk_fma_f32 v[176:177], v[82:83], s[44:45], v[164:165] neg_lo:[0,0,1] neg_hi:[0,0,1]
	v_pk_fma_f32 v[166:167], v[82:83], s[44:45], v[164:165]
	s_nop 0
	v_mov_b32_e32 v177, v167
	v_pk_add_f32 v[70:71], v[176:177], v[70:71]
	s_barrier
	s_and_saveexec_b64 s[34:35], vcc
	s_cbranch_execz .LBB0_17
; %bb.16:
	v_pk_add_f32 v[44:45], v[44:45], v[68:69]
	v_pk_mul_f32 v[192:193], v[76:77], s[42:43]
	v_pk_add_f32 v[44:45], v[46:47], v[44:45]
	s_mov_b32 s43, 0xbeedf032
	v_pk_add_f32 v[44:45], v[52:53], v[44:45]
	s_mov_b32 s54, s43
	;; [unrolled: 2-line block ×4, first 2 shown]
	v_pk_add_f32 v[44:45], v[62:63], v[44:45]
	v_pk_mul_f32 v[46:47], v[92:93], s[30:31]
	v_pk_add_f32 v[44:45], v[56:57], v[44:45]
	v_pk_mul_f32 v[180:181], v[76:77], s[14:15]
	;; [unrolled: 2-line block ×4, first 2 shown]
	v_pk_add_f32 v[44:45], v[50:51], v[44:45]
	v_pk_fma_f32 v[50:51], v[74:75], s[10:11], v[46:47] neg_lo:[1,0,0] neg_hi:[1,0,0]
	v_pk_add_f32 v[36:37], v[36:37], v[44:45]
	v_pk_add_f32 v[104:105], v[104:105], v[180:181] neg_lo:[0,1] neg_hi:[0,1]
	v_pk_add_f32 v[196:197], v[38:39], v[36:37]
	v_pk_mul_f32 v[38:39], v[94:95], s[54:55]
	v_pk_mul_f32 v[178:179], v[74:75], s[12:13]
	v_pk_fma_f32 v[36:37], v[72:73], s[42:43], v[38:39]
	v_pk_fma_f32 v[44:45], v[72:73], s[42:43], v[38:39] neg_lo:[1,0,0] neg_hi:[1,0,0]
	v_pk_mul_f32 v[184:185], v[80:81], s[18:19]
	v_mov_b32_e32 v44, v36
	v_pk_add_f32 v[48:49], v[68:69], v[44:45]
	v_pk_fma_f32 v[44:45], v[74:75], s[10:11], v[46:47]
	v_pk_add_f32 v[98:99], v[98:99], v[176:177] neg_lo:[0,1] neg_hi:[0,1]
	v_mov_b32_e32 v50, v44
	v_pk_add_f32 v[52:53], v[50:51], v[48:49]
	v_pk_mul_f32 v[50:51], v[90:91], s[52:53]
	v_mov_b32_e32 v107, v105
	v_pk_fma_f32 v[48:49], v[76:77], s[16:17], v[50:51]
	v_pk_fma_f32 v[54:55], v[76:77], s[16:17], v[50:51] neg_lo:[1,0,0] neg_hi:[1,0,0]
	v_pk_add_f32 v[104:105], v[108:109], v[182:183] neg_lo:[0,1] neg_hi:[0,1]
	v_mov_b32_e32 v54, v48
	v_pk_add_f32 v[56:57], v[54:55], v[52:53]
	v_pk_mul_f32 v[54:55], v[88:89], s[22:23]
	v_pk_mul_f32 v[186:187], v[82:83], s[20:21]
	v_pk_fma_f32 v[52:53], v[78:79], s[12:13], v[54:55]
	v_pk_fma_f32 v[58:59], v[78:79], s[12:13], v[54:55] neg_lo:[1,0,0] neg_hi:[1,0,0]
	v_mov_b32_e32 v97, v99
	v_mov_b32_e32 v58, v52
	v_pk_add_f32 v[60:61], v[58:59], v[56:57]
	v_pk_mul_f32 v[58:59], v[86:87], s[40:41]
	v_pk_add_f32 v[102:103], v[102:103], v[178:179] neg_lo:[0,1] neg_hi:[0,1]
	v_pk_fma_f32 v[56:57], v[80:81], s[24:25], v[58:59]
	v_pk_fma_f32 v[62:63], v[80:81], s[24:25], v[58:59] neg_lo:[1,0,0] neg_hi:[1,0,0]
	v_mov_b32_e32 v111, v105
	v_pk_add_f32 v[104:105], v[112:113], v[184:185] neg_lo:[0,1] neg_hi:[0,1]
	v_pk_mul_f32 v[188:189], v[72:73], s[16:17]
	v_mov_b32_e32 v62, v56
	v_mov_b32_e32 v101, v103
	v_pk_add_f32 v[96:97], v[68:69], v[96:97]
	v_mov_b32_e32 v115, v105
	v_pk_add_f32 v[104:105], v[116:117], v[186:187] neg_lo:[0,1] neg_hi:[0,1]
	v_pk_mul_f32 v[190:191], v[74:75], s[14:15]
	v_pk_add_f32 v[198:199], v[62:63], v[60:61]
	v_pk_mul_f32 v[62:63], v[84:85], s[28:29]
	v_pk_add_f32 v[96:97], v[100:101], v[96:97]
	v_mov_b32_e32 v119, v105
	v_pk_add_f32 v[104:105], v[120:121], v[188:189] neg_lo:[0,1] neg_hi:[0,1]
	v_pk_fma_f32 v[60:61], v[82:83], s[14:15], v[62:63]
	v_pk_fma_f32 v[200:201], v[82:83], s[14:15], v[62:63] neg_lo:[1,0,0] neg_hi:[1,0,0]
	v_pk_add_f32 v[96:97], v[106:107], v[96:97]
	v_mov_b32_e32 v123, v105
	v_pk_add_f32 v[106:107], v[126:127], v[190:191] neg_lo:[0,1] neg_hi:[0,1]
	v_pk_mul_f32 v[194:195], v[78:79], s[20:21]
	v_mov_b32_e32 v200, v60
	v_pk_add_f32 v[104:105], v[68:69], v[122:123]
	v_mov_b32_e32 v125, v107
	v_pk_add_f32 v[106:107], v[128:129], v[192:193] neg_lo:[0,1] neg_hi:[0,1]
	v_pk_add_f32 v[198:199], v[200:201], v[198:199]
	v_pk_mul_f32 v[200:201], v[80:81], s[10:11]
	v_lshl_add_u32 v44, v172, 3, v67
	v_pk_mul_f32 v[98:99], v[76:77], s[20:21]
	v_pk_add_f32 v[104:105], v[124:125], v[104:105]
	v_mov_b32_e32 v131, v107
	v_pk_add_f32 v[106:107], v[134:135], v[194:195] neg_lo:[0,1] neg_hi:[0,1]
	ds_write2_b64 v44, v[196:197], v[198:199] offset1:1
	v_pk_mul_f32 v[196:197], v[82:83], s[24:25]
	v_pk_mul_f32 v[178:179], v[78:79], s[16:17]
	v_pk_add_f32 v[104:105], v[130:131], v[104:105]
	v_mov_b32_e32 v133, v107
	v_pk_add_f32 v[106:107], v[138:139], v[200:201] neg_lo:[0,1] neg_hi:[0,1]
	v_pk_add_f32 v[98:99], v[152:153], v[98:99] neg_lo:[0,1] neg_hi:[0,1]
	v_pk_mul_f32 v[102:103], v[80:81], s[38:39]
	v_pk_add_f32 v[96:97], v[110:111], v[96:97]
	v_pk_add_f32 v[104:105], v[132:133], v[104:105]
	v_mov_b32_e32 v137, v107
	v_pk_add_f32 v[106:107], v[148:149], v[196:197] neg_lo:[0,1] neg_hi:[0,1]
	v_mov_b32_e32 v151, v99
	v_pk_add_f32 v[98:99], v[158:159], v[178:179] neg_lo:[0,1] neg_hi:[0,1]
	v_pk_mul_f32 v[100:101], v[82:83], s[44:45]
	v_pk_add_f32 v[96:97], v[114:115], v[96:97]
	v_pk_add_f32 v[104:105], v[136:137], v[104:105]
	v_mov_b32_e32 v155, v107
	v_mov_b32_e32 v157, v99
	v_pk_add_f32 v[98:99], v[160:161], v[102:103] neg_lo:[0,1] neg_hi:[0,1]
	v_pk_mul_f32 v[176:177], v[74:75], s[48:49]
	v_pk_add_f32 v[96:97], v[118:119], v[96:97]
	v_pk_add_f32 v[104:105], v[154:155], v[104:105]
	v_mov_b32_e32 v163, v99
	v_pk_add_f32 v[98:99], v[164:165], v[100:101] neg_lo:[0,1] neg_hi:[0,1]
	ds_write2_b64 v44, v[96:97], v[104:105] offset0:2 offset1:3
	v_pk_add_f32 v[104:105], v[146:147], v[176:177] neg_lo:[0,1] neg_hi:[0,1]
	v_mov_b32_e32 v167, v99
	v_pk_mul_f32 v[98:99], v[94:95], s[40:41]
	v_mov_b32_e32 v145, v105
	v_pk_fma_f32 v[100:101], v[72:73], s[24:25], v[98:99]
	v_pk_fma_f32 v[102:103], v[72:73], s[24:25], v[98:99] neg_lo:[1,0,0] neg_hi:[1,0,0]
	v_pk_mul_f32 v[104:105], v[92:93], s[26:27]
	v_mov_b32_e32 v102, v100
	v_pk_fma_f32 v[106:107], v[74:75], s[18:19], v[104:105]
	v_pk_fma_f32 v[108:109], v[74:75], s[18:19], v[104:105] neg_lo:[1,0,0] neg_hi:[1,0,0]
	v_pk_add_f32 v[102:103], v[68:69], v[102:103]
	v_mov_b32_e32 v108, v106
	v_pk_add_f32 v[102:103], v[108:109], v[102:103]
	v_pk_mul_f32 v[108:109], v[90:91], s[30:31]
	v_pk_mul_f32 v[198:199], v[72:73], s[12:13]
	v_pk_fma_f32 v[110:111], v[76:77], s[10:11], v[108:109]
	v_pk_fma_f32 v[112:113], v[76:77], s[10:11], v[108:109] neg_lo:[1,0,0] neg_hi:[1,0,0]
	v_pk_add_f32 v[96:97], v[142:143], v[198:199] neg_lo:[0,1] neg_hi:[0,1]
	v_mov_b32_e32 v112, v110
	v_pk_add_f32 v[102:103], v[112:113], v[102:103]
	v_pk_mul_f32 v[112:113], v[88:89], s[50:51]
	v_mov_b32_e32 v141, v97
	v_pk_fma_f32 v[114:115], v[78:79], s[38:39], v[112:113]
	v_pk_fma_f32 v[116:117], v[78:79], s[38:39], v[112:113] neg_lo:[1,0,0] neg_hi:[1,0,0]
	v_pk_add_f32 v[96:97], v[68:69], v[140:141]
	v_mov_b32_e32 v116, v114
	v_pk_add_f32 v[102:103], v[116:117], v[102:103]
	v_pk_mul_f32 v[116:117], v[86:87], s[36:37]
	v_pk_add_f32 v[96:97], v[144:145], v[96:97]
	v_pk_fma_f32 v[118:119], v[80:81], s[20:21], v[116:117]
	v_pk_fma_f32 v[120:121], v[80:81], s[20:21], v[116:117] neg_lo:[1,0,0] neg_hi:[1,0,0]
	v_pk_add_f32 v[96:97], v[150:151], v[96:97]
	v_mov_b32_e32 v120, v118
	v_pk_add_f32 v[102:103], v[120:121], v[102:103]
	v_pk_mul_f32 v[120:121], v[84:85], s[22:23]
	v_pk_add_f32 v[96:97], v[156:157], v[96:97]
	v_pk_fma_f32 v[122:123], v[82:83], s[12:13], v[120:121]
	v_pk_fma_f32 v[124:125], v[82:83], s[12:13], v[120:121] neg_lo:[1,0,0] neg_hi:[1,0,0]
	v_pk_add_f32 v[96:97], v[162:163], v[96:97]
	v_mov_b32_e32 v124, v122
	v_pk_add_f32 v[96:97], v[166:167], v[96:97]
	v_pk_add_f32 v[102:103], v[124:125], v[102:103]
	v_pk_mul_f32 v[94:95], v[94:95], s[28:29]
	ds_write2_b64 v44, v[96:97], v[102:103] offset0:4 offset1:5
	v_pk_fma_f32 v[96:97], v[72:73], s[14:15], v[94:95]
	v_pk_fma_f32 v[102:103], v[72:73], s[14:15], v[94:95] neg_lo:[1,0,0] neg_hi:[1,0,0]
	v_pk_mul_f32 v[92:93], v[92:93], s[36:37]
	v_mov_b32_e32 v102, v96
	v_pk_fma_f32 v[124:125], v[74:75], s[20:21], v[92:93]
	v_pk_fma_f32 v[126:127], v[74:75], s[20:21], v[92:93] neg_lo:[1,0,0] neg_hi:[1,0,0]
	v_pk_add_f32 v[102:103], v[68:69], v[102:103]
	v_mov_b32_e32 v126, v124
	v_pk_mul_f32 v[90:91], v[90:91], s[40:41]
	v_pk_add_f32 v[102:103], v[126:127], v[102:103]
	v_pk_fma_f32 v[126:127], v[76:77], s[24:25], v[90:91]
	v_pk_fma_f32 v[128:129], v[76:77], s[24:25], v[90:91] neg_lo:[1,0,0] neg_hi:[1,0,0]
	v_pk_mul_f32 v[88:89], v[88:89], s[46:47]
	v_mov_b32_e32 v128, v126
	v_pk_fma_f32 v[94:95], v[72:73], s[14:15], v[94:95] neg_lo:[0,0,1] neg_hi:[0,0,1]
	v_pk_add_f32 v[102:103], v[128:129], v[102:103]
	v_pk_fma_f32 v[128:129], v[78:79], s[44:45], v[88:89]
	v_pk_fma_f32 v[130:131], v[78:79], s[44:45], v[88:89] neg_lo:[1,0,0] neg_hi:[1,0,0]
	v_mov_b32_e32 v95, v97
	v_pk_fma_f32 v[92:93], v[74:75], s[20:21], v[92:93] neg_lo:[0,0,1] neg_hi:[0,0,1]
	v_mov_b32_e32 v130, v128
	v_pk_mul_f32 v[86:87], v[86:87], s[22:23]
	v_pk_add_f32 v[94:95], v[68:69], v[94:95]
	v_mov_b32_e32 v93, v125
	v_pk_fma_f32 v[90:91], v[76:77], s[24:25], v[90:91] neg_lo:[0,0,1] neg_hi:[0,0,1]
	v_pk_add_f32 v[102:103], v[130:131], v[102:103]
	v_pk_fma_f32 v[130:131], v[80:81], s[12:13], v[86:87]
	v_pk_fma_f32 v[132:133], v[80:81], s[12:13], v[86:87] neg_lo:[1,0,0] neg_hi:[1,0,0]
	v_pk_add_f32 v[92:93], v[92:93], v[94:95]
	v_mov_b32_e32 v91, v127
	v_pk_fma_f32 v[88:89], v[78:79], s[44:45], v[88:89] neg_lo:[0,0,1] neg_hi:[0,0,1]
	v_mov_b32_e32 v132, v130
	v_pk_mul_f32 v[84:85], v[84:85], s[26:27]
	v_pk_add_f32 v[90:91], v[90:91], v[92:93]
	v_mov_b32_e32 v89, v129
	v_pk_fma_f32 v[86:87], v[80:81], s[12:13], v[86:87] neg_lo:[0,0,1] neg_hi:[0,0,1]
	v_pk_add_f32 v[102:103], v[132:133], v[102:103]
	v_pk_fma_f32 v[132:133], v[82:83], s[18:19], v[84:85]
	v_pk_fma_f32 v[134:135], v[82:83], s[18:19], v[84:85] neg_lo:[1,0,0] neg_hi:[1,0,0]
	v_pk_add_f32 v[88:89], v[88:89], v[90:91]
	v_mov_b32_e32 v87, v131
	v_pk_fma_f32 v[84:85], v[82:83], s[18:19], v[84:85] neg_lo:[0,0,1] neg_hi:[0,0,1]
	v_mov_b32_e32 v134, v132
	v_pk_add_f32 v[86:87], v[86:87], v[88:89]
	v_mov_b32_e32 v85, v133
	v_pk_add_f32 v[102:103], v[134:135], v[102:103]
	v_pk_add_f32 v[84:85], v[84:85], v[86:87]
	v_pk_fma_f32 v[38:39], v[72:73], s[42:43], v[38:39] neg_lo:[0,0,1] neg_hi:[0,0,1]
	ds_write2_b64 v44, v[102:103], v[84:85] offset0:6 offset1:7
	v_pk_fma_f32 v[84:85], v[72:73], s[24:25], v[98:99] neg_lo:[0,0,1] neg_hi:[0,0,1]
	v_mov_b32_e32 v39, v37
	v_mov_b32_e32 v85, v101
	v_pk_fma_f32 v[86:87], v[74:75], s[18:19], v[104:105] neg_lo:[0,0,1] neg_hi:[0,0,1]
	v_pk_add_f32 v[36:37], v[68:69], v[38:39]
	v_pk_fma_f32 v[38:39], v[74:75], s[10:11], v[46:47] neg_lo:[0,0,1] neg_hi:[0,0,1]
	v_pk_add_f32 v[84:85], v[68:69], v[84:85]
	v_mov_b32_e32 v87, v107
	v_mov_b32_e32 v39, v45
	v_pk_add_f32 v[84:85], v[86:87], v[84:85]
	v_pk_fma_f32 v[86:87], v[76:77], s[10:11], v[108:109] neg_lo:[0,0,1] neg_hi:[0,0,1]
	v_pk_add_f32 v[36:37], v[38:39], v[36:37]
	v_pk_fma_f32 v[38:39], v[76:77], s[16:17], v[50:51] neg_lo:[0,0,1] neg_hi:[0,0,1]
	v_mov_b32_e32 v87, v111
	v_mov_b32_e32 v39, v49
	v_pk_add_f32 v[84:85], v[86:87], v[84:85]
	v_pk_fma_f32 v[86:87], v[78:79], s[38:39], v[112:113] neg_lo:[0,0,1] neg_hi:[0,0,1]
	v_pk_add_f32 v[36:37], v[38:39], v[36:37]
	v_pk_fma_f32 v[38:39], v[78:79], s[12:13], v[54:55] neg_lo:[0,0,1] neg_hi:[0,0,1]
	;; [unrolled: 6-line block ×4, first 2 shown]
	v_mov_b32_e32 v87, v123
	v_mov_b32_e32 v39, v61
	v_pk_add_f32 v[84:85], v[86:87], v[84:85]
	v_pk_add_f32 v[36:37], v[38:39], v[36:37]
	ds_write2_b64 v44, v[84:85], v[70:71] offset0:8 offset1:9
	ds_write2_b64 v44, v[40:41], v[42:43] offset0:10 offset1:11
	ds_write_b64 v44, v[36:37] offset:96
.LBB0_17:
	s_or_b64 exec, exec, s[34:35]
	v_add_u32_e32 v56, 0x800, v168
	s_waitcnt lgkmcnt(0)
	s_barrier
	ds_read2_b64 v[48:51], v168 offset1:39
	ds_read2_b64 v[36:39], v168 offset0:78 offset1:143
	ds_read2_b64 v[52:55], v56 offset0:30 offset1:69
	;; [unrolled: 1-line block ×3, first 2 shown]
	ds_read_b64 v[82:83], v168 offset:2912
	v_mov_b32_e32 v92, v4
	v_mov_b32_e32 v93, v4
	;; [unrolled: 1-line block ×18, first 2 shown]
	s_and_saveexec_b64 s[10:11], s[0:1]
	s_cbranch_execz .LBB0_19
; %bb.18:
	ds_read_b64 v[70:71], v168 offset:936
	ds_read2_b64 v[40:43], v56 offset0:4 offset1:147
.LBB0_19:
	s_or_b64 exec, exec, s[10:11]
	s_waitcnt lgkmcnt(3)
	v_pk_mul_f32 v[4:5], v[4:5], v[38:39]
	s_waitcnt lgkmcnt(2)
	v_pk_mul_f32 v[6:7], v[6:7], v[52:53]
	v_pk_fma_f32 v[94:95], v[92:93], v[38:39], v[4:5] op_sel:[0,0,1] op_sel_hi:[1,1,0]
	v_pk_fma_f32 v[4:5], v[92:93], v[38:39], v[4:5] op_sel:[0,0,1] op_sel_hi:[1,1,0] neg_lo:[0,0,1] neg_hi:[0,0,1]
	s_mov_b32 s10, 0x3f5db3d7
	v_mov_b32_e32 v95, v5
	v_pk_fma_f32 v[4:5], v[90:91], v[52:53], v[6:7] op_sel:[0,0,1] op_sel_hi:[1,1,0]
	v_pk_fma_f32 v[6:7], v[90:91], v[52:53], v[6:7] op_sel:[0,0,1] op_sel_hi:[1,1,0] neg_lo:[0,0,1] neg_hi:[0,0,1]
	s_waitcnt lgkmcnt(1)
	v_pk_mul_f32 v[8:9], v[8:9], v[44:45]
	v_mov_b32_e32 v5, v7
	v_pk_add_f32 v[6:7], v[48:49], v[94:95]
	v_pk_add_f32 v[38:39], v[94:95], v[4:5]
	;; [unrolled: 1-line block ×3, first 2 shown]
	v_pk_add_f32 v[4:5], v[94:95], v[4:5] neg_lo:[0,1] neg_hi:[0,1]
	v_pk_fma_f32 v[38:39], v[38:39], 0.5, v[48:49] op_sel_hi:[1,0,1] neg_lo:[1,0,0] neg_hi:[1,0,0]
	v_pk_mul_f32 v[4:5], v[4:5], s[10:11] op_sel_hi:[1,0]
	v_pk_mul_f32 v[10:11], v[10:11], v[54:55]
	v_pk_add_f32 v[48:49], v[38:39], v[4:5] op_sel:[0,1] op_sel_hi:[1,0] neg_lo:[0,1] neg_hi:[0,1]
	v_pk_add_f32 v[4:5], v[38:39], v[4:5] op_sel:[0,1] op_sel_hi:[1,0]
	v_mov_b32_e32 v38, v48
	v_mov_b32_e32 v39, v5
	;; [unrolled: 1-line block ×3, first 2 shown]
	s_waitcnt lgkmcnt(0)
	s_barrier
	ds_write2_b64 v173, v[6:7], v[38:39] offset1:13
	ds_write_b64 v173, v[4:5] offset:208
	v_pk_fma_f32 v[4:5], v[88:89], v[44:45], v[8:9] op_sel:[0,0,1] op_sel_hi:[1,1,0]
	v_pk_fma_f32 v[6:7], v[88:89], v[44:45], v[8:9] op_sel:[0,0,1] op_sel_hi:[1,1,0] neg_lo:[0,0,1] neg_hi:[0,0,1]
	v_pk_fma_f32 v[8:9], v[86:87], v[54:55], v[10:11] op_sel:[0,0,1] op_sel_hi:[1,1,0] neg_lo:[0,0,1] neg_hi:[0,0,1]
	v_mov_b32_e32 v5, v7
	v_pk_fma_f32 v[6:7], v[86:87], v[54:55], v[10:11] op_sel:[0,0,1] op_sel_hi:[1,1,0]
	v_pk_mul_f32 v[12:13], v[12:13], v[46:47]
	v_mov_b32_e32 v7, v9
	v_pk_add_f32 v[8:9], v[50:51], v[4:5]
	v_pk_add_f32 v[10:11], v[4:5], v[6:7]
	v_pk_add_f32 v[4:5], v[4:5], v[6:7] neg_lo:[0,1] neg_hi:[0,1]
	v_pk_fma_f32 v[10:11], v[10:11], 0.5, v[50:51] op_sel_hi:[1,0,1] neg_lo:[1,0,0] neg_hi:[1,0,0]
	v_pk_mul_f32 v[4:5], v[4:5], s[10:11] op_sel_hi:[1,0]
	v_pk_add_f32 v[8:9], v[8:9], v[6:7]
	v_pk_add_f32 v[6:7], v[10:11], v[4:5] op_sel:[0,1] op_sel_hi:[1,0] neg_lo:[0,1] neg_hi:[0,1]
	v_pk_add_f32 v[4:5], v[10:11], v[4:5] op_sel:[0,1] op_sel_hi:[1,0]
	v_pk_mul_f32 v[14:15], v[14:15], v[82:83]
	v_mov_b32_e32 v11, v5
	v_mov_b32_e32 v5, v7
	;; [unrolled: 1-line block ×3, first 2 shown]
	ds_write_b64 v171, v[4:5] offset:208
	v_pk_fma_f32 v[4:5], v[80:81], v[46:47], v[12:13] op_sel:[0,0,1] op_sel_hi:[1,1,0]
	v_pk_fma_f32 v[6:7], v[80:81], v[46:47], v[12:13] op_sel:[0,0,1] op_sel_hi:[1,1,0] neg_lo:[0,0,1] neg_hi:[0,0,1]
	ds_write2_b64 v171, v[8:9], v[10:11] offset1:13
	v_mov_b32_e32 v5, v7
	v_pk_fma_f32 v[6:7], v[84:85], v[82:83], v[14:15] op_sel:[0,0,1] op_sel_hi:[1,1,0]
	v_pk_fma_f32 v[8:9], v[84:85], v[82:83], v[14:15] op_sel:[0,0,1] op_sel_hi:[1,1,0] neg_lo:[0,0,1] neg_hi:[0,0,1]
	v_mov_b32_e32 v68, v34
	v_mov_b32_e32 v7, v9
	v_pk_add_f32 v[8:9], v[36:37], v[4:5]
	v_pk_add_f32 v[10:11], v[4:5], v[6:7]
	v_pk_add_f32 v[4:5], v[4:5], v[6:7] neg_lo:[0,1] neg_hi:[0,1]
	v_pk_fma_f32 v[10:11], v[10:11], 0.5, v[36:37] op_sel_hi:[1,0,1] neg_lo:[1,0,0] neg_hi:[1,0,0]
	v_pk_mul_f32 v[4:5], v[4:5], s[10:11] op_sel_hi:[1,0]
	v_pk_add_f32 v[8:9], v[8:9], v[6:7]
	v_pk_add_f32 v[6:7], v[10:11], v[4:5] op_sel:[0,1] op_sel_hi:[1,0] neg_lo:[0,1] neg_hi:[0,1]
	v_pk_add_f32 v[4:5], v[10:11], v[4:5] op_sel:[0,1] op_sel_hi:[1,0]
	v_mov_b32_e32 v69, v34
	v_mov_b32_e32 v34, v35
	;; [unrolled: 1-line block ×29, first 2 shown]
	ds_write2_b64 v174, v[8:9], v[10:11] offset1:13
	ds_write_b64 v174, v[4:5] offset:208
	s_and_saveexec_b64 s[12:13], s[0:1]
	s_cbranch_execz .LBB0_21
; %bb.20:
	v_pk_mul_f32 v[4:5], v[0:1], v[40:41] op_sel:[0,1]
	v_add_u32_sdwa v8, v175, v170 dst_sel:DWORD dst_unused:UNUSED_PAD src0_sel:DWORD src1_sel:BYTE_0
	v_pk_mul_f32 v[6:7], v[2:3], v[42:43] op_sel:[0,1]
	v_lshl_add_u32 v10, v8, 3, v67
	v_pk_fma_f32 v[8:9], v[0:1], v[40:41], v[4:5] op_sel:[0,0,1] op_sel_hi:[1,1,0]
	v_pk_fma_f32 v[0:1], v[0:1], v[40:41], v[4:5] op_sel:[0,0,1] op_sel_hi:[1,0,0] neg_lo:[1,0,0] neg_hi:[1,0,0]
	s_nop 0
	v_mov_b32_e32 v9, v1
	v_pk_fma_f32 v[0:1], v[2:3], v[42:43], v[6:7] op_sel:[0,0,1] op_sel_hi:[1,1,0]
	v_pk_fma_f32 v[2:3], v[2:3], v[42:43], v[6:7] op_sel:[0,0,1] op_sel_hi:[1,0,0] neg_lo:[1,0,0] neg_hi:[1,0,0]
	s_nop 0
	v_mov_b32_e32 v1, v3
	v_pk_add_f32 v[2:3], v[70:71], v[8:9]
	v_pk_add_f32 v[4:5], v[8:9], v[0:1]
	;; [unrolled: 1-line block ×3, first 2 shown]
	v_pk_add_f32 v[0:1], v[8:9], v[0:1] neg_lo:[0,1] neg_hi:[0,1]
	v_pk_fma_f32 v[4:5], -0.5, v[4:5], v[70:71] op_sel_hi:[0,1,1]
	v_pk_mul_f32 v[0:1], v[0:1], s[10:11] op_sel_hi:[1,0]
	s_nop 0
	v_pk_add_f32 v[6:7], v[4:5], v[0:1] op_sel:[0,1] op_sel_hi:[1,0] neg_lo:[0,1] neg_hi:[0,1]
	v_pk_add_f32 v[0:1], v[4:5], v[0:1] op_sel:[0,1] op_sel_hi:[1,0]
	v_mov_b32_e32 v4, v6
	v_mov_b32_e32 v5, v1
	;; [unrolled: 1-line block ×3, first 2 shown]
	ds_write2_b64 v10, v[2:3], v[4:5] offset1:13
	ds_write_b64 v10, v[0:1] offset:208
.LBB0_21:
	s_or_b64 exec, exec, s[12:13]
	s_waitcnt lgkmcnt(0)
	s_barrier
	ds_read_b64 v[40:41], v168 offset:624
	ds_read2_b64 v[0:3], v168 offset1:39
	ds_read2_b64 v[4:7], v168 offset0:117 offset1:156
	ds_read2_b64 v[8:11], v168 offset0:195 offset1:234
	v_add_u32_e32 v36, 0x800, v168
	s_waitcnt lgkmcnt(3)
	v_pk_mul_f32 v[22:23], v[22:23], v[40:41]
	ds_read2_b64 v[12:15], v36 offset0:17 offset1:56
	ds_read2_b64 v[36:39], v36 offset0:95 offset1:134
	v_pk_fma_f32 v[42:43], v[78:79], v[40:41], v[22:23] op_sel:[0,0,1] op_sel_hi:[1,1,0]
	v_pk_fma_f32 v[22:23], v[78:79], v[40:41], v[22:23] op_sel:[0,0,1] op_sel_hi:[1,1,0] neg_lo:[0,0,1] neg_hi:[0,0,1]
	s_mov_b32 s16, 0xbf0a6770
	v_mov_b32_e32 v43, v23
	s_waitcnt lgkmcnt(3)
	v_pk_mul_f32 v[22:23], v[32:33], v[4:5]
	s_mov_b32 s0, 0x3f575c64
	v_pk_fma_f32 v[32:33], v[76:77], v[4:5], v[22:23] op_sel:[0,0,1] op_sel_hi:[1,1,0]
	v_pk_fma_f32 v[4:5], v[76:77], v[4:5], v[22:23] op_sel:[0,0,1] op_sel_hi:[1,1,0] neg_lo:[0,0,1] neg_hi:[0,0,1]
	s_mov_b32 s26, 0xbf68dda4
	v_mov_b32_e32 v33, v5
	v_pk_mul_f32 v[4:5], v[34:35], v[6:7]
	s_mov_b32 s10, 0x3ed4b147
	v_pk_fma_f32 v[22:23], v[68:69], v[6:7], v[4:5] op_sel:[0,0,1] op_sel_hi:[1,1,0]
	v_pk_fma_f32 v[4:5], v[68:69], v[6:7], v[4:5] op_sel:[0,0,1] op_sel_hi:[1,1,0] neg_lo:[0,0,1] neg_hi:[0,0,1]
	s_mov_b32 s14, 0xbf7d64f0
	v_mov_b32_e32 v23, v5
	s_waitcnt lgkmcnt(2)
	v_pk_mul_f32 v[4:5], v[28:29], v[8:9]
	s_mov_b32 s12, 0xbe11bafb
	v_pk_fma_f32 v[6:7], v[62:63], v[8:9], v[4:5] op_sel:[0,0,1] op_sel_hi:[1,1,0]
	v_pk_fma_f32 v[4:5], v[62:63], v[8:9], v[4:5] op_sel:[0,0,1] op_sel_hi:[1,1,0] neg_lo:[0,0,1] neg_hi:[0,0,1]
	s_mov_b32 s20, 0xbf4178ce
	v_mov_b32_e32 v7, v5
	v_pk_mul_f32 v[4:5], v[30:31], v[10:11]
	s_mov_b32 s18, 0xbf27a4f4
	;; [unrolled: 13-line block ×3, first 2 shown]
	v_pk_fma_f32 v[12:13], v[74:75], v[14:15], v[4:5] op_sel:[0,0,1] op_sel_hi:[1,1,0]
	v_pk_fma_f32 v[4:5], v[74:75], v[14:15], v[4:5] op_sel:[0,0,1] op_sel_hi:[1,1,0] neg_lo:[0,0,1] neg_hi:[0,0,1]
	s_nop 0
	v_mov_b32_e32 v13, v5
	s_waitcnt lgkmcnt(0)
	v_pk_mul_f32 v[4:5], v[16:17], v[36:37]
	s_nop 0
	v_pk_fma_f32 v[14:15], v[72:73], v[36:37], v[4:5] op_sel:[0,0,1] op_sel_hi:[1,1,0]
	v_pk_fma_f32 v[4:5], v[72:73], v[36:37], v[4:5] op_sel:[0,0,1] op_sel_hi:[1,1,0] neg_lo:[0,0,1] neg_hi:[0,0,1]
	s_nop 0
	v_mov_b32_e32 v15, v5
	v_pk_mul_f32 v[4:5], v[18:19], v[38:39] op_sel:[1,0]
	v_pk_add_f32 v[26:27], v[42:43], v[14:15]
	v_pk_fma_f32 v[16:17], v[18:19], v[38:39], v[4:5] op_sel:[0,0,1] op_sel_hi:[1,1,0]
	v_pk_fma_f32 v[4:5], v[18:19], v[38:39], v[4:5] op_sel:[0,0,1] op_sel_hi:[0,1,0] neg_lo:[0,0,1] neg_hi:[0,0,1]
	v_mov_b32_e32 v17, v5
	v_pk_mul_f32 v[4:5], v[20:21], v[2:3]
	s_nop 0
	v_pk_fma_f32 v[18:19], v[56:57], v[2:3], v[4:5] op_sel:[0,0,1] op_sel_hi:[1,1,0]
	v_pk_fma_f32 v[2:3], v[56:57], v[2:3], v[4:5] op_sel:[0,0,1] op_sel_hi:[1,1,0] neg_lo:[0,0,1] neg_hi:[0,0,1]
	s_nop 0
	v_mov_b32_e32 v19, v3
	v_pk_add_f32 v[2:3], v[0:1], v[18:19]
	v_pk_add_f32 v[4:5], v[18:19], v[16:17]
	;; [unrolled: 1-line block ×3, first 2 shown]
	s_nop 0
	v_pk_add_f32 v[2:3], v[2:3], v[32:33]
	s_nop 0
	v_pk_add_f32 v[2:3], v[2:3], v[22:23]
	;; [unrolled: 2-line block ×7, first 2 shown]
	v_pk_add_f32 v[14:15], v[42:43], v[14:15] neg_lo:[0,1] neg_hi:[0,1]
	v_pk_add_f32 v[2:3], v[2:3], v[16:17]
	v_pk_add_f32 v[16:17], v[18:19], v[16:17] neg_lo:[0,1] neg_hi:[0,1]
	v_pk_mul_f32 v[28:29], v[14:15], s[26:27] op_sel_hi:[1,0]
	v_pk_mul_f32 v[18:19], v[16:17], s[16:17] op_sel_hi:[1,0]
	v_pk_fma_f32 v[30:31], v[26:27], s[10:11], v[28:29] op_sel:[0,0,1] op_sel_hi:[1,0,0]
	v_pk_fma_f32 v[20:21], v[4:5], s[0:1], v[18:19] op_sel:[0,0,1] op_sel_hi:[1,0,0]
	v_pk_fma_f32 v[18:19], v[4:5], s[0:1], v[18:19] op_sel:[0,0,1] op_sel_hi:[1,0,0] neg_lo:[0,0,1] neg_hi:[0,0,1]
	v_mov_b32_e32 v24, v20
	v_mov_b32_e32 v25, v19
	v_pk_fma_f32 v[28:29], v[26:27], s[10:11], v[28:29] op_sel:[0,0,1] op_sel_hi:[1,0,0] neg_lo:[0,0,1] neg_hi:[0,0,1]
	v_pk_add_f32 v[24:25], v[0:1], v[24:25]
	v_mov_b32_e32 v34, v30
	v_mov_b32_e32 v35, v29
	v_pk_add_f32 v[24:25], v[34:35], v[24:25]
	v_pk_add_f32 v[34:35], v[32:33], v[12:13]
	v_pk_add_f32 v[12:13], v[32:33], v[12:13] neg_lo:[0,1] neg_hi:[0,1]
	ds_write_b64 v169, v[2:3]
	v_pk_mul_f32 v[32:33], v[12:13], s[14:15] op_sel_hi:[1,0]
	v_pk_mul_f32 v[2:3], v[16:17], s[26:27] op_sel_hi:[1,0]
	v_pk_fma_f32 v[36:37], v[34:35], s[12:13], v[32:33] op_sel:[0,0,1] op_sel_hi:[1,0,0]
	v_pk_fma_f32 v[32:33], v[34:35], s[12:13], v[32:33] op_sel:[0,0,1] op_sel_hi:[1,0,0] neg_lo:[0,0,1] neg_hi:[0,0,1]
	v_mov_b32_e32 v38, v36
	v_mov_b32_e32 v39, v33
	v_pk_add_f32 v[24:25], v[38:39], v[24:25]
	v_pk_add_f32 v[38:39], v[22:23], v[10:11]
	v_pk_add_f32 v[10:11], v[22:23], v[10:11] neg_lo:[0,1] neg_hi:[0,1]
	v_pk_fma_f32 v[48:49], v[4:5], s[10:11], v[2:3] op_sel:[0,0,1] op_sel_hi:[1,0,0] neg_lo:[0,0,1] neg_hi:[0,0,1]
	v_pk_mul_f32 v[22:23], v[10:11], s[20:21] op_sel_hi:[1,0]
	v_pk_mul_f32 v[50:51], v[14:15], s[20:21] op_sel_hi:[1,0]
	v_pk_fma_f32 v[40:41], v[38:39], s[18:19], v[22:23] op_sel:[0,0,1] op_sel_hi:[1,0,0]
	v_pk_fma_f32 v[22:23], v[38:39], s[18:19], v[22:23] op_sel:[0,0,1] op_sel_hi:[1,0,0] neg_lo:[0,0,1] neg_hi:[0,0,1]
	v_mov_b32_e32 v42, v40
	v_mov_b32_e32 v43, v23
	v_pk_add_f32 v[24:25], v[42:43], v[24:25]
	v_pk_add_f32 v[42:43], v[6:7], v[8:9]
	v_pk_add_f32 v[6:7], v[6:7], v[8:9] neg_lo:[0,1] neg_hi:[0,1]
	v_pk_fma_f32 v[52:53], v[26:27], s[18:19], v[50:51] op_sel:[0,0,1] op_sel_hi:[1,0,0]
	v_pk_mul_f32 v[8:9], v[6:7], s[24:25] op_sel_hi:[1,0]
	v_pk_fma_f32 v[50:51], v[26:27], s[18:19], v[50:51] op_sel:[0,0,1] op_sel_hi:[1,0,0] neg_lo:[0,0,1] neg_hi:[0,0,1]
	v_pk_fma_f32 v[44:45], v[42:43], s[22:23], v[8:9] op_sel:[0,0,1] op_sel_hi:[1,0,0]
	v_pk_fma_f32 v[8:9], v[42:43], s[22:23], v[8:9] op_sel:[0,0,1] op_sel_hi:[1,0,0] neg_lo:[0,0,1] neg_hi:[0,0,1]
	v_mov_b32_e32 v46, v44
	v_mov_b32_e32 v47, v9
	v_pk_add_f32 v[24:25], v[46:47], v[24:25]
	v_pk_fma_f32 v[46:47], v[4:5], s[10:11], v[2:3] op_sel:[0,0,1] op_sel_hi:[1,0,0]
	v_mov_b32_e32 v3, v49
	v_mov_b32_e32 v2, v46
	v_pk_add_f32 v[2:3], v[0:1], v[2:3]
	v_mov_b32_e32 v54, v52
	v_mov_b32_e32 v55, v51
	s_mov_b32 s26, 0x3e903f40
	v_pk_add_f32 v[2:3], v[54:55], v[2:3]
	v_pk_mul_f32 v[54:55], v[12:13], s[26:27] op_sel_hi:[1,0]
	v_pk_mul_f32 v[72:73], v[14:15], s[26:27] op_sel_hi:[1,0]
	v_pk_fma_f32 v[56:57], v[34:35], s[22:23], v[54:55] op_sel:[0,0,1] op_sel_hi:[1,0,0]
	v_pk_fma_f32 v[54:55], v[34:35], s[22:23], v[54:55] op_sel:[0,0,1] op_sel_hi:[1,0,0] neg_lo:[0,0,1] neg_hi:[0,0,1]
	v_mov_b32_e32 v58, v56
	v_mov_b32_e32 v59, v55
	v_pk_add_f32 v[2:3], v[58:59], v[2:3]
	v_pk_mul_f32 v[58:59], v[10:11], s[28:29] op_sel_hi:[1,0]
	v_pk_fma_f32 v[74:75], v[26:27], s[22:23], v[72:73] op_sel:[0,0,1] op_sel_hi:[1,0,0]
	v_pk_fma_f32 v[60:61], v[38:39], s[12:13], v[58:59] op_sel:[0,0,1] op_sel_hi:[1,0,0]
	v_pk_fma_f32 v[58:59], v[38:39], s[12:13], v[58:59] op_sel:[0,0,1] op_sel_hi:[1,0,0] neg_lo:[0,0,1] neg_hi:[0,0,1]
	v_mov_b32_e32 v62, v60
	v_mov_b32_e32 v63, v59
	v_pk_add_f32 v[2:3], v[62:63], v[2:3]
	v_pk_mul_f32 v[62:63], v[6:7], s[30:31] op_sel_hi:[1,0]
	v_pk_fma_f32 v[72:73], v[26:27], s[22:23], v[72:73] op_sel:[0,0,1] op_sel_hi:[1,0,0] neg_lo:[0,0,1] neg_hi:[0,0,1]
	v_pk_fma_f32 v[68:69], v[42:43], s[0:1], v[62:63] op_sel:[0,0,1] op_sel_hi:[1,0,0]
	v_pk_fma_f32 v[62:63], v[42:43], s[0:1], v[62:63] op_sel:[0,0,1] op_sel_hi:[1,0,0] neg_lo:[0,0,1] neg_hi:[0,0,1]
	v_mov_b32_e32 v70, v68
	v_mov_b32_e32 v71, v63
	v_pk_add_f32 v[2:3], v[70:71], v[2:3]
	ds_write2_b64 v169, v[24:25], v[2:3] offset0:39 offset1:78
	v_pk_mul_f32 v[2:3], v[16:17], s[14:15] op_sel_hi:[1,0]
	v_mov_b32_e32 v76, v74
	v_pk_fma_f32 v[24:25], v[4:5], s[12:13], v[2:3] op_sel:[0,0,1] op_sel_hi:[1,0,0]
	v_pk_fma_f32 v[2:3], v[4:5], s[12:13], v[2:3] op_sel:[0,0,1] op_sel_hi:[1,0,0] neg_lo:[0,0,1] neg_hi:[0,0,1]
	v_mov_b32_e32 v70, v24
	v_mov_b32_e32 v71, v3
	v_pk_add_f32 v[70:71], v[0:1], v[70:71]
	v_mov_b32_e32 v77, v73
	s_mov_b32 s26, 0x3f68dda4
	v_pk_add_f32 v[70:71], v[76:77], v[70:71]
	v_pk_mul_f32 v[76:77], v[12:13], s[26:27] op_sel_hi:[1,0]
	v_pk_mul_f32 v[94:95], v[14:15], s[28:29] op_sel_hi:[1,0]
	v_pk_fma_f32 v[78:79], v[34:35], s[10:11], v[76:77] op_sel:[0,0,1] op_sel_hi:[1,0,0]
	v_pk_fma_f32 v[76:77], v[34:35], s[10:11], v[76:77] op_sel:[0,0,1] op_sel_hi:[1,0,0] neg_lo:[0,0,1] neg_hi:[0,0,1]
	v_mov_b32_e32 v80, v78
	v_mov_b32_e32 v81, v77
	v_pk_add_f32 v[70:71], v[80:81], v[70:71]
	v_pk_mul_f32 v[80:81], v[10:11], s[16:17] op_sel_hi:[1,0]
	v_pk_fma_f32 v[96:97], v[26:27], s[12:13], v[94:95] op_sel:[0,0,1] op_sel_hi:[1,0,0]
	v_pk_fma_f32 v[82:83], v[38:39], s[0:1], v[80:81] op_sel:[0,0,1] op_sel_hi:[1,0,0]
	v_pk_fma_f32 v[80:81], v[38:39], s[0:1], v[80:81] op_sel:[0,0,1] op_sel_hi:[1,0,0] neg_lo:[0,0,1] neg_hi:[0,0,1]
	v_mov_b32_e32 v84, v82
	v_mov_b32_e32 v85, v81
	v_pk_add_f32 v[70:71], v[84:85], v[70:71]
	v_pk_mul_f32 v[84:85], v[6:7], s[20:21] op_sel_hi:[1,0]
	v_pk_fma_f32 v[94:95], v[26:27], s[12:13], v[94:95] op_sel:[0,0,1] op_sel_hi:[1,0,0] neg_lo:[0,0,1] neg_hi:[0,0,1]
	v_pk_fma_f32 v[86:87], v[42:43], s[18:19], v[84:85] op_sel:[0,0,1] op_sel_hi:[1,0,0]
	v_pk_fma_f32 v[84:85], v[42:43], s[18:19], v[84:85] op_sel:[0,0,1] op_sel_hi:[1,0,0] neg_lo:[0,0,1] neg_hi:[0,0,1]
	v_mov_b32_e32 v88, v86
	v_mov_b32_e32 v89, v85
	v_pk_add_f32 v[70:71], v[88:89], v[70:71]
	v_pk_mul_f32 v[88:89], v[16:17], s[20:21] op_sel_hi:[1,0]
	v_mov_b32_e32 v98, v96
	v_pk_fma_f32 v[90:91], v[4:5], s[18:19], v[88:89] op_sel:[0,0,1] op_sel_hi:[1,0,0]
	v_pk_fma_f32 v[88:89], v[4:5], s[18:19], v[88:89] op_sel:[0,0,1] op_sel_hi:[1,0,0] neg_lo:[0,0,1] neg_hi:[0,0,1]
	v_mov_b32_e32 v92, v90
	v_mov_b32_e32 v93, v89
	v_pk_add_f32 v[92:93], v[0:1], v[92:93]
	v_mov_b32_e32 v99, v95
	v_pk_add_f32 v[92:93], v[98:99], v[92:93]
	v_pk_mul_f32 v[98:99], v[12:13], s[16:17] op_sel_hi:[1,0]
	v_pk_mul_f32 v[16:17], v[16:17], s[24:25] op_sel_hi:[1,0]
	v_pk_fma_f32 v[100:101], v[34:35], s[0:1], v[98:99] op_sel:[0,0,1] op_sel_hi:[1,0,0]
	v_pk_fma_f32 v[98:99], v[34:35], s[0:1], v[98:99] op_sel:[0,0,1] op_sel_hi:[1,0,0] neg_lo:[0,0,1] neg_hi:[0,0,1]
	v_mov_b32_e32 v102, v100
	v_mov_b32_e32 v103, v99
	v_pk_add_f32 v[92:93], v[102:103], v[92:93]
	v_pk_mul_f32 v[102:103], v[10:11], s[24:25] op_sel_hi:[1,0]
	v_pk_mul_f32 v[14:15], v[14:15], s[30:31] op_sel_hi:[1,0]
	v_pk_fma_f32 v[104:105], v[38:39], s[22:23], v[102:103] op_sel:[0,0,1] op_sel_hi:[1,0,0]
	v_pk_fma_f32 v[102:103], v[38:39], s[22:23], v[102:103] op_sel:[0,0,1] op_sel_hi:[1,0,0] neg_lo:[0,0,1] neg_hi:[0,0,1]
	v_mov_b32_e32 v106, v104
	;; [unrolled: 7-line block ×3, first 2 shown]
	v_mov_b32_e32 v111, v107
	v_pk_add_f32 v[92:93], v[110:111], v[92:93]
	ds_write2_b64 v169, v[70:71], v[92:93] offset0:117 offset1:156
	v_pk_fma_f32 v[70:71], v[4:5], s[22:23], v[16:17] op_sel:[0,0,1] op_sel_hi:[1,0,0]
	v_pk_fma_f32 v[4:5], v[4:5], s[22:23], v[16:17] op_sel:[0,0,1] op_sel_hi:[1,0,0] neg_lo:[0,0,1] neg_hi:[0,0,1]
	v_mov_b32_e32 v16, v70
	v_mov_b32_e32 v17, v5
	v_pk_fma_f32 v[92:93], v[26:27], s[0:1], v[14:15] op_sel:[0,0,1] op_sel_hi:[1,0,0]
	v_pk_fma_f32 v[14:15], v[26:27], s[0:1], v[14:15] op_sel:[0,0,1] op_sel_hi:[1,0,0] neg_lo:[0,0,1] neg_hi:[0,0,1]
	v_pk_add_f32 v[16:17], v[0:1], v[16:17]
	v_mov_b32_e32 v26, v92
	v_mov_b32_e32 v27, v15
	v_pk_add_f32 v[16:17], v[26:27], v[16:17]
	v_pk_fma_f32 v[26:27], v[34:35], s[18:19], v[12:13] op_sel:[0,0,1] op_sel_hi:[1,0,0]
	v_pk_fma_f32 v[12:13], v[34:35], s[18:19], v[12:13] op_sel:[0,0,1] op_sel_hi:[1,0,0] neg_lo:[0,0,1] neg_hi:[0,0,1]
	v_mov_b32_e32 v34, v26
	v_mov_b32_e32 v35, v13
	v_pk_mul_f32 v[10:11], v[10:11], s[26:27] op_sel_hi:[1,0]
	v_mov_b32_e32 v5, v71
	v_pk_add_f32 v[16:17], v[34:35], v[16:17]
	v_pk_fma_f32 v[34:35], v[38:39], s[10:11], v[10:11] op_sel:[0,0,1] op_sel_hi:[1,0,0]
	v_pk_fma_f32 v[10:11], v[38:39], s[10:11], v[10:11] op_sel:[0,0,1] op_sel_hi:[1,0,0] neg_lo:[0,0,1] neg_hi:[0,0,1]
	v_pk_add_f32 v[4:5], v[0:1], v[4:5]
	v_mov_b32_e32 v15, v93
	v_mov_b32_e32 v38, v34
	;; [unrolled: 1-line block ×3, first 2 shown]
	v_pk_mul_f32 v[6:7], v[6:7], s[14:15] op_sel_hi:[1,0]
	v_pk_add_f32 v[4:5], v[14:15], v[4:5]
	v_mov_b32_e32 v13, v27
	v_pk_add_f32 v[16:17], v[38:39], v[16:17]
	v_pk_fma_f32 v[38:39], v[42:43], s[12:13], v[6:7] op_sel:[0,0,1] op_sel_hi:[1,0,0]
	v_pk_fma_f32 v[6:7], v[42:43], s[12:13], v[6:7] op_sel:[0,0,1] op_sel_hi:[1,0,0] neg_lo:[0,0,1] neg_hi:[0,0,1]
	v_pk_add_f32 v[4:5], v[12:13], v[4:5]
	v_mov_b32_e32 v11, v35
	v_mov_b32_e32 v42, v38
	;; [unrolled: 1-line block ×3, first 2 shown]
	v_pk_add_f32 v[4:5], v[10:11], v[4:5]
	v_mov_b32_e32 v7, v39
	v_pk_add_f32 v[16:17], v[42:43], v[16:17]
	v_pk_add_f32 v[4:5], v[6:7], v[4:5]
	v_mov_b32_e32 v89, v91
	v_mov_b32_e32 v3, v25
	ds_write2_b64 v169, v[16:17], v[4:5] offset0:195 offset1:234
	v_pk_add_f32 v[4:5], v[0:1], v[88:89]
	v_mov_b32_e32 v95, v97
	v_pk_add_f32 v[2:3], v[0:1], v[2:3]
	v_mov_b32_e32 v73, v75
	;; [unrolled: 2-line block ×8, first 2 shown]
	v_pk_add_f32 v[4:5], v[106:107], v[4:5]
	v_pk_add_f32 v[6:7], v[84:85], v[2:3]
	v_add_u32_e32 v2, 0x800, v169
	v_mov_b32_e32 v49, v47
	v_mov_b32_e32 v19, v21
	ds_write2_b64 v2, v[4:5], v[6:7] offset0:17 offset1:56
	v_pk_add_f32 v[4:5], v[0:1], v[48:49]
	v_mov_b32_e32 v51, v53
	v_pk_add_f32 v[0:1], v[0:1], v[18:19]
	v_mov_b32_e32 v29, v31
	;; [unrolled: 2-line block ×8, first 2 shown]
	v_pk_add_f32 v[4:5], v[62:63], v[4:5]
	v_pk_add_f32 v[0:1], v[8:9], v[0:1]
	ds_write2_b64 v2, v[4:5], v[0:1] offset0:95 offset1:134
	s_waitcnt lgkmcnt(0)
	s_barrier
	s_and_b64 exec, exec, vcc
	s_cbranch_execz .LBB0_23
; %bb.22:
	global_load_dwordx2 v[0:1], v65, s[2:3]
	global_load_dwordx2 v[12:13], v65, s[2:3] offset:264
	global_load_dwordx2 v[14:15], v65, s[2:3] offset:528
	;; [unrolled: 1-line block ×4, first 2 shown]
	ds_read_b64 v[24:25], v169
	ds_read2_b64 v[4:7], v169 offset0:33 offset1:66
	ds_read2_b64 v[8:11], v169 offset0:99 offset1:132
	global_load_dwordx2 v[28:29], v65, s[2:3] offset:1320
	global_load_dwordx2 v[30:31], v65, s[2:3] offset:1584
	;; [unrolled: 1-line block ×3, first 2 shown]
	v_mov_b32_e32 v18, s8
	v_mov_b32_e32 v19, s9
	v_mad_u64_u32 v[26:27], s[8:9], s4, v66, 0
	v_mov_b32_e32 v36, v27
	v_mad_u64_u32 v[36:37], s[8:9], s5, v66, v[36:37]
	;; [unrolled: 2-line block ×4, first 2 shown]
	v_mov_b32_e32 v23, v34
	s_mov_b32 s0, 0x58e9ebb6
	v_lshl_add_u64 v[18:19], v[22:23], 3, v[18:19]
	s_mov_b32 s1, 0x3f631877
	v_mov_b32_e32 v38, 0x108
	v_lshl_add_u64 v[18:19], v[26:27], 3, v[18:19]
	s_mul_i32 s6, s5, 0x108
	v_mad_u64_u32 v[22:23], s[8:9], s4, v38, v[18:19]
	v_add_u32_e32 v23, s6, v23
	v_mad_u64_u32 v[26:27], s[8:9], s4, v38, v[22:23]
	v_add_u32_e32 v27, s6, v27
	;; [unrolled: 2-line block ×3, first 2 shown]
	s_waitcnt vmcnt(7) lgkmcnt(2)
	v_mul_f32_e32 v3, v25, v1
	s_waitcnt vmcnt(6) lgkmcnt(1)
	v_mul_f32_e32 v36, v5, v13
	v_mul_f32_e32 v13, v4, v13
	s_waitcnt vmcnt(5)
	v_mul_f32_e32 v37, v7, v15
	v_mul_f32_e32 v1, v24, v1
	;; [unrolled: 1-line block ×3, first 2 shown]
	s_waitcnt vmcnt(4) lgkmcnt(0)
	v_mul_f32_e32 v39, v9, v17
	v_mul_f32_e32 v17, v8, v17
	v_fmac_f32_e32 v36, v4, v12
	v_fma_f32 v12, v12, v5, -v13
	v_fmac_f32_e32 v37, v6, v14
	v_fmac_f32_e32 v3, v24, v0
	v_fma_f32 v24, v0, v25, -v1
	v_fma_f32 v14, v14, v7, -v15
	v_fmac_f32_e32 v39, v8, v16
	v_fma_f32 v25, v16, v9, -v17
	v_cvt_f64_f32_e32 v[6:7], v36
	v_cvt_f64_f32_e32 v[8:9], v12
	;; [unrolled: 1-line block ×3, first 2 shown]
	global_load_dwordx2 v[36:37], v65, s[2:3] offset:2112
	v_cvt_f64_f32_e32 v[0:1], v3
	v_cvt_f64_f32_e32 v[4:5], v24
	v_mul_f64 v[0:1], v[0:1], s[0:1]
	v_mul_f64 v[4:5], v[4:5], s[0:1]
	v_cvt_f32_f64_e32 v0, v[0:1]
	v_cvt_f32_f64_e32 v1, v[4:5]
	global_store_dwordx2 v[18:19], v[0:1], off
	global_load_dwordx2 v[0:1], v65, s[2:3] offset:2376
	v_cvt_f64_f32_e32 v[14:15], v14
	v_cvt_f64_f32_e32 v[16:17], v39
	;; [unrolled: 1-line block ×3, first 2 shown]
	v_mul_f64 v[6:7], v[6:7], s[0:1]
	v_mul_f64 v[8:9], v[8:9], s[0:1]
	s_waitcnt vmcnt(6)
	v_mul_f32_e32 v3, v11, v21
	v_mul_f64 v[12:13], v[12:13], s[0:1]
	v_mul_f64 v[14:15], v[14:15], s[0:1]
	;; [unrolled: 1-line block ×4, first 2 shown]
	v_cvt_f32_f64_e32 v4, v[6:7]
	v_cvt_f32_f64_e32 v5, v[8:9]
	v_fmac_f32_e32 v3, v10, v20
	v_cvt_f32_f64_e32 v6, v[12:13]
	v_cvt_f32_f64_e32 v7, v[14:15]
	;; [unrolled: 1-line block ×4, first 2 shown]
	global_store_dwordx2 v[22:23], v[4:5], off
	global_store_dwordx2 v[26:27], v[6:7], off
	;; [unrolled: 1-line block ×3, first 2 shown]
	v_cvt_f64_f32_e32 v[4:5], v3
	v_mul_f32_e32 v3, v10, v21
	v_fma_f32 v3, v20, v11, -v3
	global_load_dwordx2 v[10:11], v65, s[2:3] offset:2640
	global_load_dwordx2 v[14:15], v65, s[2:3] offset:2904
	v_mul_f64 v[4:5], v[4:5], s[0:1]
	v_cvt_f32_f64_e32 v8, v[4:5]
	v_cvt_f64_f32_e32 v[4:5], v3
	v_mul_f64 v[4:5], v[4:5], s[0:1]
	v_cvt_f32_f64_e32 v9, v[4:5]
	ds_read2_b64 v[4:7], v169 offset0:165 offset1:198
	v_mad_u64_u32 v[12:13], s[8:9], s4, v38, v[34:35]
	v_add_u32_e32 v13, s6, v13
	global_store_dwordx2 v[12:13], v[8:9], off
	s_waitcnt vmcnt(11) lgkmcnt(0)
	v_mul_f32_e32 v3, v5, v29
	v_fmac_f32_e32 v3, v4, v28
	v_cvt_f64_f32_e32 v[8:9], v3
	v_mul_f32_e32 v3, v4, v29
	v_fma_f32 v3, v28, v5, -v3
	v_cvt_f64_f32_e32 v[4:5], v3
	s_waitcnt vmcnt(10)
	v_mul_f32_e32 v3, v7, v31
	v_mul_f64 v[8:9], v[8:9], s[0:1]
	v_mul_f64 v[4:5], v[4:5], s[0:1]
	v_fmac_f32_e32 v3, v6, v30
	v_cvt_f32_f64_e32 v8, v[8:9]
	v_cvt_f32_f64_e32 v9, v[4:5]
	v_mad_u64_u32 v[12:13], s[8:9], s4, v38, v[12:13]
	v_cvt_f64_f32_e32 v[4:5], v3
	v_mul_f32_e32 v3, v6, v31
	v_add_u32_e32 v13, s6, v13
	v_mul_f64 v[4:5], v[4:5], s[0:1]
	v_fma_f32 v3, v30, v7, -v3
	global_store_dwordx2 v[12:13], v[8:9], off
	v_cvt_f32_f64_e32 v8, v[4:5]
	v_cvt_f64_f32_e32 v[4:5], v3
	v_mul_f64 v[4:5], v[4:5], s[0:1]
	v_add_u32_e32 v3, 0x400, v169
	v_cvt_f32_f64_e32 v9, v[4:5]
	ds_read2_b64 v[4:7], v3 offset0:103 offset1:136
	v_mad_u64_u32 v[12:13], s[8:9], s4, v38, v[12:13]
	v_add_u32_e32 v13, s6, v13
	global_store_dwordx2 v[12:13], v[8:9], off
	s_waitcnt vmcnt(11) lgkmcnt(0)
	v_mul_f32_e32 v3, v5, v33
	v_fmac_f32_e32 v3, v4, v32
	v_cvt_f64_f32_e32 v[8:9], v3
	v_mul_f32_e32 v3, v4, v33
	v_fma_f32 v3, v32, v5, -v3
	v_cvt_f64_f32_e32 v[4:5], v3
	v_mul_f64 v[8:9], v[8:9], s[0:1]
	v_mul_f64 v[4:5], v[4:5], s[0:1]
	s_waitcnt vmcnt(10)
	v_mul_f32_e32 v3, v7, v37
	v_fmac_f32_e32 v3, v6, v36
	v_cvt_f32_f64_e32 v8, v[8:9]
	v_cvt_f32_f64_e32 v9, v[4:5]
	v_mad_u64_u32 v[12:13], s[8:9], s4, v38, v[12:13]
	v_cvt_f64_f32_e32 v[4:5], v3
	v_mul_f32_e32 v3, v6, v37
	v_add_u32_e32 v13, s6, v13
	v_mul_f64 v[4:5], v[4:5], s[0:1]
	v_fma_f32 v3, v36, v7, -v3
	global_store_dwordx2 v[12:13], v[8:9], off
	v_cvt_f32_f64_e32 v8, v[4:5]
	v_cvt_f64_f32_e32 v[4:5], v3
	v_mul_f64 v[4:5], v[4:5], s[0:1]
	v_cvt_f32_f64_e32 v9, v[4:5]
	ds_read2_b64 v[4:7], v2 offset0:41 offset1:74
	v_mad_u64_u32 v[12:13], s[8:9], s4, v38, v[12:13]
	v_add_u32_e32 v13, s6, v13
	global_store_dwordx2 v[12:13], v[8:9], off
	s_waitcnt vmcnt(10) lgkmcnt(0)
	v_mul_f32_e32 v3, v5, v1
	v_mul_f32_e32 v1, v4, v1
	v_fmac_f32_e32 v3, v4, v0
	v_fma_f32 v0, v0, v5, -v1
	v_cvt_f64_f32_e32 v[8:9], v3
	v_cvt_f64_f32_e32 v[0:1], v0
	v_mul_f64 v[8:9], v[8:9], s[0:1]
	v_mul_f64 v[0:1], v[0:1], s[0:1]
	v_cvt_f32_f64_e32 v8, v[8:9]
	v_cvt_f32_f64_e32 v9, v[0:1]
	s_waitcnt vmcnt(6)
	v_mul_f32_e32 v0, v7, v11
	v_fmac_f32_e32 v0, v6, v10
	v_mad_u64_u32 v[4:5], s[8:9], s4, v38, v[12:13]
	v_cvt_f64_f32_e32 v[0:1], v0
	v_add_u32_e32 v5, s6, v5
	v_mul_f64 v[0:1], v[0:1], s[0:1]
	global_store_dwordx2 v[4:5], v[8:9], off
	v_cvt_f32_f64_e32 v8, v[0:1]
	v_mul_f32_e32 v0, v6, v11
	v_fma_f32 v0, v10, v7, -v0
	v_cvt_f64_f32_e32 v[0:1], v0
	v_mul_f64 v[0:1], v[0:1], s[0:1]
	v_cvt_f32_f64_e32 v9, v[0:1]
	ds_read2_b64 v[0:3], v2 offset0:107 offset1:140
	v_mad_u64_u32 v[4:5], s[8:9], s4, v38, v[4:5]
	v_add_u32_e32 v5, s6, v5
	global_store_dwordx2 v[4:5], v[8:9], off
	s_waitcnt vmcnt(7) lgkmcnt(0)
	v_mul_f32_e32 v6, v1, v15
	v_fmac_f32_e32 v6, v0, v14
	v_mul_f32_e32 v0, v0, v15
	v_fma_f32 v0, v14, v1, -v0
	v_cvt_f64_f32_e32 v[6:7], v6
	v_cvt_f64_f32_e32 v[0:1], v0
	v_mul_f64 v[6:7], v[6:7], s[0:1]
	v_mul_f64 v[0:1], v[0:1], s[0:1]
	v_cvt_f32_f64_e32 v6, v[6:7]
	v_cvt_f32_f64_e32 v7, v[0:1]
	v_mad_u64_u32 v[0:1], s[8:9], s4, v38, v[4:5]
	v_add_u32_e32 v1, s6, v1
	global_store_dwordx2 v[0:1], v[6:7], off
	global_load_dwordx2 v[4:5], v65, s[2:3] offset:3168
	s_waitcnt vmcnt(0)
	v_mul_f32_e32 v6, v3, v5
	v_fmac_f32_e32 v6, v2, v4
	v_mul_f32_e32 v2, v2, v5
	v_fma_f32 v2, v4, v3, -v2
	v_cvt_f64_f32_e32 v[6:7], v6
	v_cvt_f64_f32_e32 v[2:3], v2
	v_mul_f64 v[6:7], v[6:7], s[0:1]
	v_mul_f64 v[2:3], v[2:3], s[0:1]
	v_mad_u64_u32 v[0:1], s[0:1], s4, v38, v[0:1]
	v_cvt_f32_f64_e32 v6, v[6:7]
	v_cvt_f32_f64_e32 v7, v[2:3]
	v_add_u32_e32 v1, s6, v1
	global_store_dwordx2 v[0:1], v[6:7], off
.LBB0_23:
	s_endpgm
	.section	.rodata,"a",@progbits
	.p2align	6, 0x0
	.amdhsa_kernel bluestein_single_fwd_len429_dim1_sp_op_CI_CI
		.amdhsa_group_segment_fixed_size 10296
		.amdhsa_private_segment_fixed_size 0
		.amdhsa_kernarg_size 104
		.amdhsa_user_sgpr_count 2
		.amdhsa_user_sgpr_dispatch_ptr 0
		.amdhsa_user_sgpr_queue_ptr 0
		.amdhsa_user_sgpr_kernarg_segment_ptr 1
		.amdhsa_user_sgpr_dispatch_id 0
		.amdhsa_user_sgpr_kernarg_preload_length 0
		.amdhsa_user_sgpr_kernarg_preload_offset 0
		.amdhsa_user_sgpr_private_segment_size 0
		.amdhsa_uses_dynamic_stack 0
		.amdhsa_enable_private_segment 0
		.amdhsa_system_sgpr_workgroup_id_x 1
		.amdhsa_system_sgpr_workgroup_id_y 0
		.amdhsa_system_sgpr_workgroup_id_z 0
		.amdhsa_system_sgpr_workgroup_info 0
		.amdhsa_system_vgpr_workitem_id 0
		.amdhsa_next_free_vgpr 202
		.amdhsa_next_free_sgpr 56
		.amdhsa_accum_offset 204
		.amdhsa_reserve_vcc 1
		.amdhsa_float_round_mode_32 0
		.amdhsa_float_round_mode_16_64 0
		.amdhsa_float_denorm_mode_32 3
		.amdhsa_float_denorm_mode_16_64 3
		.amdhsa_dx10_clamp 1
		.amdhsa_ieee_mode 1
		.amdhsa_fp16_overflow 0
		.amdhsa_tg_split 0
		.amdhsa_exception_fp_ieee_invalid_op 0
		.amdhsa_exception_fp_denorm_src 0
		.amdhsa_exception_fp_ieee_div_zero 0
		.amdhsa_exception_fp_ieee_overflow 0
		.amdhsa_exception_fp_ieee_underflow 0
		.amdhsa_exception_fp_ieee_inexact 0
		.amdhsa_exception_int_div_zero 0
	.end_amdhsa_kernel
	.text
.Lfunc_end0:
	.size	bluestein_single_fwd_len429_dim1_sp_op_CI_CI, .Lfunc_end0-bluestein_single_fwd_len429_dim1_sp_op_CI_CI
                                        ; -- End function
	.section	.AMDGPU.csdata,"",@progbits
; Kernel info:
; codeLenInByte = 14320
; NumSgprs: 62
; NumVgprs: 202
; NumAgprs: 0
; TotalNumVgprs: 202
; ScratchSize: 0
; MemoryBound: 0
; FloatMode: 240
; IeeeMode: 1
; LDSByteSize: 10296 bytes/workgroup (compile time only)
; SGPRBlocks: 7
; VGPRBlocks: 25
; NumSGPRsForWavesPerEU: 62
; NumVGPRsForWavesPerEU: 202
; AccumOffset: 204
; Occupancy: 2
; WaveLimiterHint : 1
; COMPUTE_PGM_RSRC2:SCRATCH_EN: 0
; COMPUTE_PGM_RSRC2:USER_SGPR: 2
; COMPUTE_PGM_RSRC2:TRAP_HANDLER: 0
; COMPUTE_PGM_RSRC2:TGID_X_EN: 1
; COMPUTE_PGM_RSRC2:TGID_Y_EN: 0
; COMPUTE_PGM_RSRC2:TGID_Z_EN: 0
; COMPUTE_PGM_RSRC2:TIDIG_COMP_CNT: 0
; COMPUTE_PGM_RSRC3_GFX90A:ACCUM_OFFSET: 50
; COMPUTE_PGM_RSRC3_GFX90A:TG_SPLIT: 0
	.text
	.p2alignl 6, 3212836864
	.fill 256, 4, 3212836864
	.type	__hip_cuid_18569dc14f4b5f60,@object ; @__hip_cuid_18569dc14f4b5f60
	.section	.bss,"aw",@nobits
	.globl	__hip_cuid_18569dc14f4b5f60
__hip_cuid_18569dc14f4b5f60:
	.byte	0                               ; 0x0
	.size	__hip_cuid_18569dc14f4b5f60, 1

	.ident	"AMD clang version 19.0.0git (https://github.com/RadeonOpenCompute/llvm-project roc-6.4.0 25133 c7fe45cf4b819c5991fe208aaa96edf142730f1d)"
	.section	".note.GNU-stack","",@progbits
	.addrsig
	.addrsig_sym __hip_cuid_18569dc14f4b5f60
	.amdgpu_metadata
---
amdhsa.kernels:
  - .agpr_count:     0
    .args:
      - .actual_access:  read_only
        .address_space:  global
        .offset:         0
        .size:           8
        .value_kind:     global_buffer
      - .actual_access:  read_only
        .address_space:  global
        .offset:         8
        .size:           8
        .value_kind:     global_buffer
      - .actual_access:  read_only
        .address_space:  global
        .offset:         16
        .size:           8
        .value_kind:     global_buffer
      - .actual_access:  read_only
        .address_space:  global
        .offset:         24
        .size:           8
        .value_kind:     global_buffer
      - .actual_access:  read_only
        .address_space:  global
        .offset:         32
        .size:           8
        .value_kind:     global_buffer
      - .offset:         40
        .size:           8
        .value_kind:     by_value
      - .address_space:  global
        .offset:         48
        .size:           8
        .value_kind:     global_buffer
      - .address_space:  global
        .offset:         56
        .size:           8
        .value_kind:     global_buffer
      - .address_space:  global
        .offset:         64
        .size:           8
        .value_kind:     global_buffer
      - .address_space:  global
        .offset:         72
        .size:           8
        .value_kind:     global_buffer
      - .offset:         80
        .size:           4
        .value_kind:     by_value
      - .address_space:  global
        .offset:         88
        .size:           8
        .value_kind:     global_buffer
      - .address_space:  global
        .offset:         96
        .size:           8
        .value_kind:     global_buffer
    .group_segment_fixed_size: 10296
    .kernarg_segment_align: 8
    .kernarg_segment_size: 104
    .language:       OpenCL C
    .language_version:
      - 2
      - 0
    .max_flat_workgroup_size: 117
    .name:           bluestein_single_fwd_len429_dim1_sp_op_CI_CI
    .private_segment_fixed_size: 0
    .sgpr_count:     62
    .sgpr_spill_count: 0
    .symbol:         bluestein_single_fwd_len429_dim1_sp_op_CI_CI.kd
    .uniform_work_group_size: 1
    .uses_dynamic_stack: false
    .vgpr_count:     202
    .vgpr_spill_count: 0
    .wavefront_size: 64
amdhsa.target:   amdgcn-amd-amdhsa--gfx950
amdhsa.version:
  - 1
  - 2
...

	.end_amdgpu_metadata
